;; amdgpu-corpus repo=ROCm/rocFFT kind=compiled arch=gfx906 opt=O3
	.text
	.amdgcn_target "amdgcn-amd-amdhsa--gfx906"
	.amdhsa_code_object_version 6
	.protected	fft_rtc_back_len1768_factors_17_13_8_wgs_136_tpt_136_halfLds_half_ip_CI_sbrr_dirReg ; -- Begin function fft_rtc_back_len1768_factors_17_13_8_wgs_136_tpt_136_halfLds_half_ip_CI_sbrr_dirReg
	.globl	fft_rtc_back_len1768_factors_17_13_8_wgs_136_tpt_136_halfLds_half_ip_CI_sbrr_dirReg
	.p2align	8
	.type	fft_rtc_back_len1768_factors_17_13_8_wgs_136_tpt_136_halfLds_half_ip_CI_sbrr_dirReg,@function
fft_rtc_back_len1768_factors_17_13_8_wgs_136_tpt_136_halfLds_half_ip_CI_sbrr_dirReg: ; @fft_rtc_back_len1768_factors_17_13_8_wgs_136_tpt_136_halfLds_half_ip_CI_sbrr_dirReg
; %bb.0:
	s_load_dwordx2 s[2:3], s[4:5], 0x18
	s_load_dwordx4 s[8:11], s[4:5], 0x0
	s_load_dwordx2 s[14:15], s[4:5], 0x50
	v_mul_u32_u24_e32 v1, 0x1e2, v0
	v_add_u32_sdwa v5, s6, v1 dst_sel:DWORD dst_unused:UNUSED_PAD src0_sel:DWORD src1_sel:WORD_1
	s_waitcnt lgkmcnt(0)
	s_load_dwordx2 s[12:13], s[2:3], 0x0
	v_cmp_lt_u64_e64 s[0:1], s[10:11], 2
	v_mov_b32_e32 v3, 0
	v_mov_b32_e32 v1, 0
	;; [unrolled: 1-line block ×3, first 2 shown]
	s_and_b64 vcc, exec, s[0:1]
	v_mov_b32_e32 v2, 0
	s_cbranch_vccnz .LBB0_8
; %bb.1:
	s_load_dwordx2 s[0:1], s[4:5], 0x10
	s_add_u32 s6, s2, 8
	s_addc_u32 s7, s3, 0
	v_mov_b32_e32 v1, 0
	v_mov_b32_e32 v2, 0
	s_waitcnt lgkmcnt(0)
	s_add_u32 s16, s0, 8
	s_addc_u32 s17, s1, 0
	s_mov_b64 s[18:19], 1
.LBB0_2:                                ; =>This Inner Loop Header: Depth=1
	s_load_dwordx2 s[20:21], s[16:17], 0x0
                                        ; implicit-def: $vgpr7_vgpr8
	s_waitcnt lgkmcnt(0)
	v_or_b32_e32 v4, s21, v6
	v_cmp_ne_u64_e32 vcc, 0, v[3:4]
	s_and_saveexec_b64 s[0:1], vcc
	s_xor_b64 s[22:23], exec, s[0:1]
	s_cbranch_execz .LBB0_4
; %bb.3:                                ;   in Loop: Header=BB0_2 Depth=1
	v_cvt_f32_u32_e32 v4, s20
	v_cvt_f32_u32_e32 v7, s21
	s_sub_u32 s0, 0, s20
	s_subb_u32 s1, 0, s21
	v_mac_f32_e32 v4, 0x4f800000, v7
	v_rcp_f32_e32 v4, v4
	v_mul_f32_e32 v4, 0x5f7ffffc, v4
	v_mul_f32_e32 v7, 0x2f800000, v4
	v_trunc_f32_e32 v7, v7
	v_mac_f32_e32 v4, 0xcf800000, v7
	v_cvt_u32_f32_e32 v7, v7
	v_cvt_u32_f32_e32 v4, v4
	v_mul_lo_u32 v8, s0, v7
	v_mul_hi_u32 v9, s0, v4
	v_mul_lo_u32 v11, s1, v4
	v_mul_lo_u32 v10, s0, v4
	v_add_u32_e32 v8, v9, v8
	v_add_u32_e32 v8, v8, v11
	v_mul_hi_u32 v9, v4, v10
	v_mul_lo_u32 v11, v4, v8
	v_mul_hi_u32 v13, v4, v8
	v_mul_hi_u32 v12, v7, v10
	v_mul_lo_u32 v10, v7, v10
	v_mul_hi_u32 v14, v7, v8
	v_add_co_u32_e32 v9, vcc, v9, v11
	v_addc_co_u32_e32 v11, vcc, 0, v13, vcc
	v_mul_lo_u32 v8, v7, v8
	v_add_co_u32_e32 v9, vcc, v9, v10
	v_addc_co_u32_e32 v9, vcc, v11, v12, vcc
	v_addc_co_u32_e32 v10, vcc, 0, v14, vcc
	v_add_co_u32_e32 v8, vcc, v9, v8
	v_addc_co_u32_e32 v9, vcc, 0, v10, vcc
	v_add_co_u32_e32 v4, vcc, v4, v8
	v_addc_co_u32_e32 v7, vcc, v7, v9, vcc
	v_mul_lo_u32 v8, s0, v7
	v_mul_hi_u32 v9, s0, v4
	v_mul_lo_u32 v10, s1, v4
	v_mul_lo_u32 v11, s0, v4
	v_add_u32_e32 v8, v9, v8
	v_add_u32_e32 v8, v8, v10
	v_mul_lo_u32 v12, v4, v8
	v_mul_hi_u32 v13, v4, v11
	v_mul_hi_u32 v14, v4, v8
	;; [unrolled: 1-line block ×3, first 2 shown]
	v_mul_lo_u32 v11, v7, v11
	v_mul_hi_u32 v9, v7, v8
	v_add_co_u32_e32 v12, vcc, v13, v12
	v_addc_co_u32_e32 v13, vcc, 0, v14, vcc
	v_mul_lo_u32 v8, v7, v8
	v_add_co_u32_e32 v11, vcc, v12, v11
	v_addc_co_u32_e32 v10, vcc, v13, v10, vcc
	v_addc_co_u32_e32 v9, vcc, 0, v9, vcc
	v_add_co_u32_e32 v8, vcc, v10, v8
	v_addc_co_u32_e32 v9, vcc, 0, v9, vcc
	v_add_co_u32_e32 v4, vcc, v4, v8
	v_addc_co_u32_e32 v9, vcc, v7, v9, vcc
	v_mad_u64_u32 v[7:8], s[0:1], v5, v9, 0
	v_mul_hi_u32 v10, v5, v4
	v_add_co_u32_e32 v11, vcc, v10, v7
	v_addc_co_u32_e32 v12, vcc, 0, v8, vcc
	v_mad_u64_u32 v[7:8], s[0:1], v6, v4, 0
	v_mad_u64_u32 v[9:10], s[0:1], v6, v9, 0
	v_add_co_u32_e32 v4, vcc, v11, v7
	v_addc_co_u32_e32 v4, vcc, v12, v8, vcc
	v_addc_co_u32_e32 v7, vcc, 0, v10, vcc
	v_add_co_u32_e32 v4, vcc, v4, v9
	v_addc_co_u32_e32 v9, vcc, 0, v7, vcc
	v_mul_lo_u32 v10, s21, v4
	v_mul_lo_u32 v11, s20, v9
	v_mad_u64_u32 v[7:8], s[0:1], s20, v4, 0
	v_add3_u32 v8, v8, v11, v10
	v_sub_u32_e32 v10, v6, v8
	v_mov_b32_e32 v11, s21
	v_sub_co_u32_e32 v7, vcc, v5, v7
	v_subb_co_u32_e64 v10, s[0:1], v10, v11, vcc
	v_subrev_co_u32_e64 v11, s[0:1], s20, v7
	v_subbrev_co_u32_e64 v10, s[0:1], 0, v10, s[0:1]
	v_cmp_le_u32_e64 s[0:1], s21, v10
	v_cndmask_b32_e64 v12, 0, -1, s[0:1]
	v_cmp_le_u32_e64 s[0:1], s20, v11
	v_cndmask_b32_e64 v11, 0, -1, s[0:1]
	v_cmp_eq_u32_e64 s[0:1], s21, v10
	v_cndmask_b32_e64 v10, v12, v11, s[0:1]
	v_add_co_u32_e64 v11, s[0:1], 2, v4
	v_addc_co_u32_e64 v12, s[0:1], 0, v9, s[0:1]
	v_add_co_u32_e64 v13, s[0:1], 1, v4
	v_addc_co_u32_e64 v14, s[0:1], 0, v9, s[0:1]
	v_subb_co_u32_e32 v8, vcc, v6, v8, vcc
	v_cmp_ne_u32_e64 s[0:1], 0, v10
	v_cmp_le_u32_e32 vcc, s21, v8
	v_cndmask_b32_e64 v10, v14, v12, s[0:1]
	v_cndmask_b32_e64 v12, 0, -1, vcc
	v_cmp_le_u32_e32 vcc, s20, v7
	v_cndmask_b32_e64 v7, 0, -1, vcc
	v_cmp_eq_u32_e32 vcc, s21, v8
	v_cndmask_b32_e32 v7, v12, v7, vcc
	v_cmp_ne_u32_e32 vcc, 0, v7
	v_cndmask_b32_e64 v7, v13, v11, s[0:1]
	v_cndmask_b32_e32 v8, v9, v10, vcc
	v_cndmask_b32_e32 v7, v4, v7, vcc
.LBB0_4:                                ;   in Loop: Header=BB0_2 Depth=1
	s_andn2_saveexec_b64 s[0:1], s[22:23]
	s_cbranch_execz .LBB0_6
; %bb.5:                                ;   in Loop: Header=BB0_2 Depth=1
	v_cvt_f32_u32_e32 v4, s20
	s_sub_i32 s22, 0, s20
	v_rcp_iflag_f32_e32 v4, v4
	v_mul_f32_e32 v4, 0x4f7ffffe, v4
	v_cvt_u32_f32_e32 v4, v4
	v_mul_lo_u32 v7, s22, v4
	v_mul_hi_u32 v7, v4, v7
	v_add_u32_e32 v4, v4, v7
	v_mul_hi_u32 v4, v5, v4
	v_mul_lo_u32 v7, v4, s20
	v_add_u32_e32 v8, 1, v4
	v_sub_u32_e32 v7, v5, v7
	v_subrev_u32_e32 v9, s20, v7
	v_cmp_le_u32_e32 vcc, s20, v7
	v_cndmask_b32_e32 v7, v7, v9, vcc
	v_cndmask_b32_e32 v4, v4, v8, vcc
	v_add_u32_e32 v8, 1, v4
	v_cmp_le_u32_e32 vcc, s20, v7
	v_cndmask_b32_e32 v7, v4, v8, vcc
	v_mov_b32_e32 v8, v3
.LBB0_6:                                ;   in Loop: Header=BB0_2 Depth=1
	s_or_b64 exec, exec, s[0:1]
	v_mul_lo_u32 v4, v8, s20
	v_mul_lo_u32 v11, v7, s21
	v_mad_u64_u32 v[9:10], s[0:1], v7, s20, 0
	s_load_dwordx2 s[0:1], s[6:7], 0x0
	s_add_u32 s18, s18, 1
	v_add3_u32 v4, v10, v11, v4
	v_sub_co_u32_e32 v5, vcc, v5, v9
	v_subb_co_u32_e32 v4, vcc, v6, v4, vcc
	s_waitcnt lgkmcnt(0)
	v_mul_lo_u32 v4, s0, v4
	v_mul_lo_u32 v6, s1, v5
	v_mad_u64_u32 v[1:2], s[0:1], s0, v5, v[1:2]
	s_addc_u32 s19, s19, 0
	s_add_u32 s6, s6, 8
	v_add3_u32 v2, v6, v2, v4
	v_mov_b32_e32 v4, s10
	v_mov_b32_e32 v5, s11
	s_addc_u32 s7, s7, 0
	v_cmp_ge_u64_e32 vcc, s[18:19], v[4:5]
	s_add_u32 s16, s16, 8
	s_addc_u32 s17, s17, 0
	s_cbranch_vccnz .LBB0_9
; %bb.7:                                ;   in Loop: Header=BB0_2 Depth=1
	v_mov_b32_e32 v5, v7
	v_mov_b32_e32 v6, v8
	s_branch .LBB0_2
.LBB0_8:
	v_mov_b32_e32 v8, v6
	v_mov_b32_e32 v7, v5
.LBB0_9:
	s_lshl_b64 s[0:1], s[10:11], 3
	s_add_u32 s0, s2, s0
	s_addc_u32 s1, s3, s1
	s_load_dwordx2 s[2:3], s[0:1], 0x0
	s_load_dwordx2 s[6:7], s[4:5], 0x20
	v_mov_b32_e32 v15, 0
                                        ; implicit-def: $vgpr16
                                        ; implicit-def: $vgpr17
                                        ; implicit-def: $vgpr18
                                        ; implicit-def: $vgpr6
                                        ; implicit-def: $vgpr19
                                        ; implicit-def: $vgpr11
                                        ; implicit-def: $vgpr20
                                        ; implicit-def: $vgpr12
                                        ; implicit-def: $vgpr21
                                        ; implicit-def: $vgpr13
                                        ; implicit-def: $vgpr22
                                        ; implicit-def: $vgpr14
                                        ; implicit-def: $vgpr23
                                        ; implicit-def: $vgpr32
                                        ; implicit-def: $vgpr24
                                        ; implicit-def: $vgpr33
                                        ; implicit-def: $vgpr25
                                        ; implicit-def: $vgpr34
                                        ; implicit-def: $vgpr26
                                        ; implicit-def: $vgpr35
                                        ; implicit-def: $vgpr27
                                        ; implicit-def: $vgpr36
                                        ; implicit-def: $vgpr28
                                        ; implicit-def: $vgpr37
                                        ; implicit-def: $vgpr29
                                        ; implicit-def: $vgpr38
                                        ; implicit-def: $vgpr30
                                        ; implicit-def: $vgpr39
                                        ; implicit-def: $vgpr31
                                        ; implicit-def: $vgpr40
	s_waitcnt lgkmcnt(0)
	v_mad_u64_u32 v[1:2], s[0:1], s2, v7, v[1:2]
	s_mov_b32 s0, 0x1e1e1e2
	v_mul_lo_u32 v3, s2, v8
	v_mul_lo_u32 v4, s3, v7
	v_mul_hi_u32 v5, v0, s0
	v_cmp_gt_u64_e32 vcc, s[6:7], v[7:8]
	s_movk_i32 s0, 0x68
	v_add3_u32 v2, v4, v2, v3
	v_mul_u32_u24_e32 v3, 0x88, v5
	v_sub_u32_e32 v9, v0, v3
	v_cmp_gt_u32_e64 s[0:1], s0, v9
	v_lshlrev_b64 v[7:8], 2, v[1:2]
	s_and_b64 s[2:3], vcc, s[0:1]
	v_mov_b32_e32 v0, 0
                                        ; implicit-def: $vgpr4
                                        ; implicit-def: $vgpr5
	s_and_saveexec_b64 s[4:5], s[2:3]
	s_cbranch_execz .LBB0_11
; %bb.10:
	v_mad_u64_u32 v[0:1], s[2:3], s12, v9, 0
	v_add_u32_e32 v5, 0x68, v9
	v_mov_b32_e32 v4, s15
	v_mad_u64_u32 v[1:2], s[2:3], s13, v9, v[1:2]
	v_mad_u64_u32 v[2:3], s[2:3], s12, v5, 0
	v_add_co_u32_e64 v40, s[2:3], s14, v7
	v_addc_co_u32_e64 v41, s[2:3], v4, v8, s[2:3]
	v_mad_u64_u32 v[3:4], s[2:3], s13, v5, v[3:4]
	v_add_u32_e32 v6, 0xd0, v9
	v_mad_u64_u32 v[4:5], s[2:3], s12, v6, 0
	v_lshlrev_b64 v[0:1], 2, v[0:1]
	v_add_co_u32_e64 v15, s[2:3], v40, v0
	v_addc_co_u32_e64 v16, s[2:3], v41, v1, s[2:3]
	v_lshlrev_b64 v[0:1], 2, v[2:3]
	v_mov_b32_e32 v2, v5
	v_mad_u64_u32 v[2:3], s[2:3], s13, v6, v[2:3]
	v_add_u32_e32 v3, 0x138, v9
	v_mad_u64_u32 v[10:11], s[2:3], s12, v3, 0
	v_add_co_u32_e64 v17, s[2:3], v40, v0
	v_mov_b32_e32 v5, v2
	v_mov_b32_e32 v2, v11
	v_addc_co_u32_e64 v18, s[2:3], v41, v1, s[2:3]
	v_lshlrev_b64 v[0:1], 2, v[4:5]
	v_mad_u64_u32 v[2:3], s[2:3], s13, v3, v[2:3]
	v_add_u32_e32 v5, 0x1a0, v9
	v_mad_u64_u32 v[3:4], s[2:3], s12, v5, 0
	v_add_co_u32_e64 v19, s[2:3], v40, v0
	v_mov_b32_e32 v11, v2
	v_mov_b32_e32 v2, v4
	v_addc_co_u32_e64 v20, s[2:3], v41, v1, s[2:3]
	v_lshlrev_b64 v[0:1], 2, v[10:11]
	v_mad_u64_u32 v[4:5], s[2:3], s13, v5, v[2:3]
	v_add_u32_e32 v10, 0x208, v9
	v_mad_u64_u32 v[5:6], s[2:3], s12, v10, 0
	v_add_co_u32_e64 v21, s[2:3], v40, v0
	v_mov_b32_e32 v2, v6
	v_addc_co_u32_e64 v22, s[2:3], v41, v1, s[2:3]
	v_lshlrev_b64 v[0:1], 2, v[3:4]
	v_mad_u64_u32 v[2:3], s[2:3], s13, v10, v[2:3]
	v_add_u32_e32 v10, 0x270, v9
	v_mad_u64_u32 v[3:4], s[2:3], s12, v10, 0
	v_add_co_u32_e64 v23, s[2:3], v40, v0
	v_mov_b32_e32 v6, v2
	v_mov_b32_e32 v2, v4
	v_addc_co_u32_e64 v24, s[2:3], v41, v1, s[2:3]
	v_lshlrev_b64 v[0:1], 2, v[5:6]
	v_mad_u64_u32 v[4:5], s[2:3], s13, v10, v[2:3]
	v_add_u32_e32 v10, 0x2d8, v9
	v_mad_u64_u32 v[5:6], s[2:3], s12, v10, 0
	v_add_co_u32_e64 v25, s[2:3], v40, v0
	v_mov_b32_e32 v2, v6
	v_addc_co_u32_e64 v26, s[2:3], v41, v1, s[2:3]
	v_lshlrev_b64 v[0:1], 2, v[3:4]
	v_mad_u64_u32 v[2:3], s[2:3], s13, v10, v[2:3]
	v_add_co_u32_e64 v27, s[2:3], v40, v0
	v_add_u32_e32 v4, 0x340, v9
	v_addc_co_u32_e64 v28, s[2:3], v41, v1, s[2:3]
	v_mov_b32_e32 v6, v2
	v_mad_u64_u32 v[2:3], s[2:3], s12, v4, 0
	v_lshlrev_b64 v[0:1], 2, v[5:6]
	v_add_u32_e32 v10, 0x3a8, v9
	v_add_co_u32_e64 v29, s[2:3], v40, v0
	v_mov_b32_e32 v0, v3
	v_addc_co_u32_e64 v30, s[2:3], v41, v1, s[2:3]
	v_mad_u64_u32 v[3:4], s[2:3], s13, v4, v[0:1]
	global_load_dword v0, v[15:16], off
	global_load_dword v4, v[17:18], off
	;; [unrolled: 1-line block ×8, first 2 shown]
	v_mad_u64_u32 v[31:32], s[2:3], s12, v10, 0
	v_lshlrev_b64 v[1:2], 2, v[2:3]
	v_mov_b32_e32 v3, v32
	s_waitcnt vmcnt(6)
	v_mad_u64_u32 v[15:16], s[2:3], s13, v10, v[3:4]
	v_add_u32_e32 v10, 0x410, v9
	v_mad_u64_u32 v[16:17], s[2:3], s12, v10, 0
	v_add_co_u32_e64 v1, s[2:3], v40, v1
	v_mov_b32_e32 v3, v17
	v_addc_co_u32_e64 v2, s[2:3], v41, v2, s[2:3]
	v_mad_u64_u32 v[20:21], s[2:3], s13, v10, v[3:4]
	v_add_u32_e32 v10, 0x478, v9
	v_mad_u64_u32 v[21:22], s[2:3], s12, v10, 0
	v_mov_b32_e32 v32, v15
	v_lshlrev_b64 v[18:19], 2, v[31:32]
	v_mov_b32_e32 v3, v22
	v_add_co_u32_e64 v18, s[2:3], v40, v18
	v_addc_co_u32_e64 v19, s[2:3], v41, v19, s[2:3]
	v_mad_u64_u32 v[22:23], s[2:3], s13, v10, v[3:4]
	v_add_u32_e32 v10, 0x4e0, v9
	v_mad_u64_u32 v[23:24], s[2:3], s12, v10, 0
	v_mov_b32_e32 v17, v20
	v_lshlrev_b64 v[15:16], 2, v[16:17]
	v_mov_b32_e32 v3, v24
	v_add_co_u32_e64 v15, s[2:3], v40, v15
	v_addc_co_u32_e64 v16, s[2:3], v41, v16, s[2:3]
	v_mad_u64_u32 v[24:25], s[2:3], s13, v10, v[3:4]
	v_add_u32_e32 v10, 0x548, v9
	v_mad_u64_u32 v[25:26], s[2:3], s12, v10, 0
	v_lshlrev_b64 v[20:21], 2, v[21:22]
	v_lshlrev_b64 v[22:23], 2, v[23:24]
	v_add_co_u32_e64 v20, s[2:3], v40, v20
	v_mov_b32_e32 v3, v26
	v_addc_co_u32_e64 v21, s[2:3], v41, v21, s[2:3]
	v_mad_u64_u32 v[26:27], s[2:3], s13, v10, v[3:4]
	v_add_u32_e32 v10, 0x5b0, v9
	v_mad_u64_u32 v[27:28], s[2:3], s12, v10, 0
	v_add_co_u32_e64 v22, s[2:3], v40, v22
	v_mov_b32_e32 v3, v28
	v_addc_co_u32_e64 v23, s[2:3], v41, v23, s[2:3]
	v_mad_u64_u32 v[28:29], s[2:3], s13, v10, v[3:4]
	v_add_u32_e32 v10, 0x618, v9
	v_mad_u64_u32 v[29:30], s[2:3], s12, v10, 0
	v_lshlrev_b64 v[24:25], 2, v[25:26]
	v_lshlrev_b64 v[26:27], 2, v[27:28]
	v_add_co_u32_e64 v24, s[2:3], v40, v24
	v_mov_b32_e32 v3, v30
	v_addc_co_u32_e64 v25, s[2:3], v41, v25, s[2:3]
	v_mad_u64_u32 v[30:31], s[2:3], s13, v10, v[3:4]
	v_add_co_u32_e64 v26, s[2:3], v40, v26
	v_or_b32_e32 v10, 0x680, v9
	v_addc_co_u32_e64 v27, s[2:3], v41, v27, s[2:3]
	v_lshlrev_b64 v[28:29], 2, v[29:30]
	v_mad_u64_u32 v[30:31], s[2:3], s12, v10, 0
	v_add_co_u32_e64 v28, s[2:3], v40, v28
	v_mov_b32_e32 v3, v31
	v_addc_co_u32_e64 v29, s[2:3], v41, v29, s[2:3]
	v_mad_u64_u32 v[31:32], s[2:3], s13, v10, v[3:4]
	global_load_dword v32, v[1:2], off
	global_load_dword v33, v[18:19], off
	;; [unrolled: 1-line block ×8, first 2 shown]
	v_lshrrev_b32_e32 v15, 16, v0
	v_lshlrev_b64 v[1:2], 2, v[30:31]
	v_lshrrev_b32_e32 v16, 16, v4
	v_add_co_u32_e64 v1, s[2:3], v40, v1
	v_addc_co_u32_e64 v2, s[2:3], v41, v2, s[2:3]
	global_load_dword v40, v[1:2], off
	s_waitcnt vmcnt(14)
	v_lshrrev_b32_e32 v17, 16, v5
	s_waitcnt vmcnt(13)
	v_lshrrev_b32_e32 v18, 16, v6
	;; [unrolled: 2-line block ×15, first 2 shown]
.LBB0_11:
	s_or_b64 exec, exec, s[4:5]
	v_sub_f16_e32 v68, v16, v31
	v_add_f16_e32 v67, v4, v40
	s_movk_i32 s30, 0x39e9
	v_mul_f16_e32 v70, 0xb964, v68
	v_sub_f16_e32 v66, v17, v30
	v_fma_f16 v1, v67, s30, -v70
	s_movk_i32 s27, 0x2de8
	v_add_f16_e32 v63, v5, v39
	v_mul_f16_e32 v69, 0xbbf7, v66
	v_sub_f16_e32 v65, v18, v29
	v_add_f16_e32 v1, v0, v1
	v_fma_f16 v2, v63, s27, -v69
	s_mov_b32 s28, 0xb8d2
	v_add_f16_e32 v58, v6, v38
	v_mul_f16_e32 v61, 0xba62, v65
	v_sub_f16_e32 v64, v19, v28
	v_add_f16_e32 v1, v2, v1
	v_fma_f16 v2, v58, s28, -v61
	s_mov_b32 s29, 0xbbdd
	;; [unrolled: 6-line block ×4, first 2 shown]
	v_add_f16_e32 v51, v13, v35
	v_mul_f16_e32 v52, 0x3bb2, v60
	v_add_f16_e32 v1, v2, v1
	v_fma_f16 v2, v51, s33, -v52
	v_sub_f16_e32 v59, v22, v25
	v_add_f16_e32 v2, v2, v1
	s_movk_i32 s34, 0x3722
	v_add_f16_e32 v1, v14, v34
	v_mul_f16_e32 v49, 0x3b29, v59
	v_fma_f16 v3, v1, s34, -v49
	v_sub_f16_e32 v57, v23, v24
	v_add_f16_e32 v2, v3, v2
	s_movk_i32 s35, 0x3b76
	v_add_f16_e32 v42, v32, v33
	v_mul_f16_e32 v3, 0x35c8, v57
	s_mov_b32 s19, 0xbb29bbf7
	v_fma_f16 v10, v42, s35, -v3
	s_mov_b32 s4, 0x37222de8
	v_pk_mul_f16 v41, v68, s19 op_sel_hi:[0,1]
	s_mov_b32 s20, 0xba62b1e1
	v_add_f16_e32 v10, v10, v2
	v_pk_fma_f16 v2, v67, s4, v41 op_sel_hi:[0,1,1] neg_lo:[0,0,1] neg_hi:[0,0,1]
	s_mov_b32 s5, 0xb8d2bbdd
	v_pk_mul_f16 v43, v66, s20 op_sel_hi:[0,1]
	v_pk_add_f16 v2, v0, v2 op_sel_hi:[0,1]
	v_pk_fma_f16 v44, v63, s5, v43 op_sel_hi:[0,1,1] neg_lo:[0,0,1] neg_hi:[0,0,1]
	s_mov_b32 s21, 0x31e13bb2
	v_pk_add_f16 v2, v44, v2
	s_mov_b32 s6, 0xbbddb461
	v_pk_mul_f16 v44, v65, s21 op_sel_hi:[0,1]
	v_pk_fma_f16 v45, v58, s6, v44 op_sel_hi:[0,1,1] neg_lo:[0,0,1] neg_hi:[0,0,1]
	s_mov_b32 s22, 0x3bb235c8
	v_pk_add_f16 v2, v45, v2
	s_mov_b32 s7, 0xb4613b76
	v_pk_mul_f16 v45, v64, s22 op_sel_hi:[0,1]
	;; [unrolled: 5-line block ×6, first 2 shown]
	v_pk_fma_f16 v71, v42, s17, v50 op_sel_hi:[0,1,1] neg_lo:[0,0,1] neg_hi:[0,0,1]
	s_mov_b32 s18, 0x5040100
	v_pk_add_f16 v2, v71, v2
	s_and_saveexec_b64 s[2:3], s[0:1]
	s_cbranch_execz .LBB0_13
; %bb.12:
	v_mul_f16_e32 v78, 0xb5c8, v68
	v_fma_f16 v79, v67, s35, -v78
	v_mul_f16_e32 v80, 0xb964, v66
	v_add_f16_e32 v79, v0, v79
	v_fma_f16 v81, v63, s30, -v80
	v_add_f16_e32 v79, v81, v79
	v_mul_f16_e32 v81, 0xbb29, v65
	v_fma_f16 v82, v58, s34, -v81
	v_add_f16_e32 v79, v82, v79
	v_mul_f16_e32 v82, 0xbbf7, v64
	;; [unrolled: 3-line block ×6, first 2 shown]
	v_fma_f16 v87, v42, s29, -v86
	v_add_f16_e32 v79, v87, v79
	v_add_f16_e32 v87, v0, v4
	;; [unrolled: 1-line block ×8, first 2 shown]
	v_mul_f16_e32 v71, 0x39e9, v67
	v_add_f16_e32 v87, v87, v32
	v_perm_b32 v70, v70, v78, s18
	v_mul_f16_e32 v78, 0x3b76, v67
	v_add_f16_e32 v87, v87, v33
	v_perm_b32 v71, v71, v78, s18
	v_mul_f16_e32 v72, 0x2de8, v63
	v_add_f16_e32 v87, v87, v34
	v_pk_add_f16 v70, v70, v71
	v_pack_b32_f16 v71, v63, v63
	v_perm_b32 v69, v69, v80, s18
	v_pk_mul_f16 v80, v63, s5 op_sel_hi:[0,1]
	v_mul_f16_e32 v63, 0x39e9, v63
	v_add_f16_e32 v87, v87, v35
	v_perm_b32 v0, v0, v0, s18
	v_perm_b32 v63, v72, v63, s18
	v_mul_f16_e32 v73, 0xb8d2, v58
	v_add_f16_e32 v87, v87, v36
	v_pack_b32_f16 v72, v58, v58
	v_pk_add_f16 v63, v69, v63
	v_pk_mul_f16 v69, v58, s6 op_sel_hi:[0,1]
	v_pk_add_f16 v70, v0, v70
	v_mul_f16_e32 v58, 0x3722, v58
	v_mul_f16_e32 v74, 0xbbdd, v55
	v_add_f16_e32 v87, v87, v37
	v_pk_add_f16 v63, v63, v70
	v_pack_b32_f16 v70, v55, v55
	v_perm_b32 v61, v61, v81, s18
	v_pk_mul_f16 v81, v55, s7 op_sel_hi:[0,1]
	v_perm_b32 v58, v73, v58, s18
	v_mul_f16_e32 v55, 0x2de8, v55
	v_mul_f16_e32 v75, 0xbacd, v53
	v_add_f16_e32 v87, v87, v38
	v_pack_b32_f16 v73, v53, v53
	v_pk_add_f16 v58, v61, v58
	v_pk_mul_f16 v61, v53, s10 op_sel_hi:[0,1]
	v_perm_b32 v56, v56, v82, s18
	v_perm_b32 v55, v74, v55, s18
	v_mul_f16_e32 v53, 0xb461, v53
	v_mul_f16_e32 v76, 0xb461, v51
	v_add_f16_e32 v87, v87, v39
	v_pk_add_f16 v58, v58, v63
	v_pack_b32_f16 v63, v51, v51
	v_pk_mul_f16 v82, v51, s11 op_sel_hi:[0,1]
	v_pk_add_f16 v55, v56, v55
	v_perm_b32 v54, v54, v83, s18
	v_perm_b32 v53, v75, v53, s18
	v_mul_f16_e32 v51, 0xb8d2, v51
	v_mul_f16_e32 v77, 0x3722, v1
	v_add_f16_e32 v87, v87, v40
	v_mad_u32_u24 v88, v9, 34, 0
	v_pack_b32_f16 v74, v1, v1
	v_pk_mul_f16 v56, v1, s16 op_sel_hi:[0,1]
	v_pk_add_f16 v55, v55, v58
	v_pk_add_f16 v53, v54, v53
	v_perm_b32 v52, v52, v84, s18
	v_perm_b32 v51, v76, v51, s18
	v_mul_f16_e32 v1, 0xbacd, v1
	ds_write_b16 v88, v87
	v_mul_f16_e32 v87, 0x3b76, v42
	v_pack_b32_f16 v58, v42, v42
	v_pk_mul_f16 v83, v42, s17 op_sel_hi:[0,1]
	v_pk_add_f16 v53, v53, v55
	v_pk_add_f16 v51, v52, v51
	v_perm_b32 v49, v49, v85, s18
	v_mul_f16_e32 v42, 0xbbdd, v42
	v_perm_b32 v1, v77, v1, s18
	v_pk_add_f16 v51, v51, v53
	v_pk_add_f16 v1, v49, v1
	v_perm_b32 v3, v3, v86, s18
	v_perm_b32 v42, v87, v42, s18
	v_pack_b32_f16 v78, v67, v67
	v_pk_mul_f16 v67, v67, s4 op_sel_hi:[0,1]
	v_pk_add_f16 v1, v1, v51
	v_pk_add_f16 v3, v3, v42
	;; [unrolled: 1-line block ×16, first 2 shown]
	v_pack_b32_f16 v68, v68, v68
	v_pack_b32_f16 v57, v57, v57
	s_mov_b32 s28, 0xb1e1b836
	s_mov_b32 s36, 0x3bf7bbb2
	;; [unrolled: 1-line block ×3, first 2 shown]
	v_pk_add_f16 v1, v3, v1
	v_pk_add_f16 v3, v50, v83
	v_pack_b32_f16 v66, v66, v66
	v_pk_mul_f16 v75, v68, s28
	s_mov_b32 s29, 0x35c83b29
	v_pk_mul_f16 v85, v57, s36
	s_mov_b32 s36, 0xb8d2b461
	;; [unrolled: 2-line block ×3, first 2 shown]
	v_pk_add_f16 v1, v3, v1
	v_pack_b32_f16 v65, v65, v65
	v_pk_mul_f16 v54, v66, s29
	s_mov_b32 s30, 0xb836bbf7
	s_mov_b32 s37, 0xb461bacd
	v_pk_mul_f16 v66, v66, s38
	s_mov_b32 s39, 0xb5c83964
	v_alignbit_b32 v43, v1, v1, 16
	v_pk_fma_f16 v1, v78, s36, v68
	v_pack_b32_f16 v64, v64, v64
	v_pk_mul_f16 v55, v65, s30
	s_mov_b32 s31, 0x39643a62
	s_mov_b32 s38, 0x3b7639e9
	v_pk_mul_f16 v65, v65, s39
	s_mov_b32 s40, 0xb836bb29
	v_pk_add_f16 v1, v0, v1
	v_pk_fma_f16 v3, v71, s37, v66
	v_pack_b32_f16 v62, v62, v62
	v_pk_mul_f16 v84, v64, s31
	s_mov_b32 s33, 0xba62b5c8
	s_mov_b32 s39, 0xbacd3722
	v_pk_mul_f16 v64, v64, s40
	s_mov_b32 s41, 0x3bf7b1e1
	v_pk_add_f16 v1, v3, v1
	;; [unrolled: 8-line block ×4, first 2 shown]
	v_pk_fma_f16 v3, v73, s40, v62
	v_pk_mul_f16 v53, v59, s35
	s_mov_b32 s42, 0xbbdd3b76
	v_pk_mul_f16 v59, v59, s43
	s_mov_b32 s44, 0x3b29ba62
	v_pk_add_f16 v1, v3, v1
	v_pk_fma_f16 v3, v63, s41, v60
	s_mov_b32 s43, 0x3722b8d2
	v_pk_mul_f16 v57, v57, s44
	v_pk_add_f16 v1, v3, v1
	v_pk_fma_f16 v3, v74, s42, v59
	s_mov_b32 s27, 0xbbddbacd
	v_pk_add_f16 v1, v3, v1
	v_pk_fma_f16 v3, v58, s43, v57
	s_mov_b32 s28, 0x3b763722
	;; [unrolled: 3-line block ×8, first 2 shown]
	v_pk_add_f16 v1, v3, v1
	v_pk_fma_f16 v3, v74, s34, v53
	v_pk_add_f16 v1, v3, v1
	v_pk_fma_f16 v3, v58, s35, v85
	v_pk_add_f16 v45, v3, v1
	v_pk_fma_f16 v1, v78, s27, v75 neg_lo:[0,0,1] neg_hi:[0,0,1]
	v_pk_add_f16 v1, v0, v1
	v_pk_fma_f16 v3, v71, s28, v54 neg_lo:[0,0,1] neg_hi:[0,0,1]
	;; [unrolled: 2-line block ×16, first 2 shown]
	v_pk_add_f16 v0, v1, v0
	v_alignbit_b32 v1, v0, v0, 16
	v_alignbit_b32 v0, v3, v3, 16
	v_perm_b32 v3, v79, v10, s18
	ds_write_b128 v88, v[42:45] offset:2
	ds_write_b128 v88, v[0:3] offset:18
.LBB0_13:
	s_or_b64 exec, exec, s[2:3]
	v_sub_f16_e32 v69, v4, v40
	s_mov_b32 s2, 0xb964b5c8
	v_add_f16_e32 v45, v16, v31
	v_sub_f16_e32 v67, v5, v39
	s_mov_b32 s35, 0x39e93b76
	v_pk_mul_f16 v3, v69, s2 op_sel_hi:[0,1]
	s_mov_b32 s2, 0xbbf7b964
	v_add_f16_e32 v47, v17, v30
	v_sub_f16_e32 v65, v6, v38
	s_mov_b32 s27, 0x2de839e9
	v_pk_mul_f16 v4, v67, s2 op_sel_hi:[0,1]
	s_mov_b32 s2, 0xba62bb29
	v_pk_fma_f16 v0, v45, s35, v3 op_sel_hi:[0,1,1]
	v_add_f16_e32 v48, v18, v29
	v_sub_f16_e32 v63, v11, v37
	s_mov_b32 s28, 0xb8d23722
	v_pk_mul_f16 v6, v65, s2 op_sel_hi:[0,1]
	s_mov_b32 s2, 0xb1e1bbf7
	v_pk_add_f16 v0, v15, v0 op_sel_hi:[0,1]
	v_pk_fma_f16 v1, v47, s27, v4 op_sel_hi:[0,1,1]
	v_add_f16_e32 v49, v19, v28
	v_sub_f16_e32 v61, v12, v36
	v_sub_f16_e32 v59, v13, v35
	s_mov_b32 s29, 0xbbdd2de8
	v_pk_mul_f16 v13, v63, s2 op_sel_hi:[0,1]
	s_mov_b32 s2, 0x3836bbb2
	v_pk_add_f16 v0, v1, v0
	v_pk_fma_f16 v1, v48, s28, v6 op_sel_hi:[0,1,1]
	v_add_f16_e32 v50, v20, v27
	s_mov_b32 s30, 0xbacdb461
	v_pk_mul_f16 v42, v61, s2 op_sel_hi:[0,1]
	s_mov_b32 s2, 0x3bb2ba62
	v_pk_add_f16 v0, v1, v0
	v_pk_fma_f16 v1, v49, s29, v13 op_sel_hi:[0,1,1]
	v_add_f16_e32 v51, v21, v26
	v_sub_f16_e32 v57, v14, v34
	s_mov_b32 s31, 0xb461b8d2
	v_pk_mul_f16 v43, v59, s2 op_sel_hi:[0,1]
	s_mov_b32 s2, 0x3b29b836
	v_pk_add_f16 v0, v1, v0
	v_pk_fma_f16 v1, v50, s30, v42 op_sel_hi:[0,1,1]
	v_add_f16_e32 v52, v22, v25
	v_sub_f16_e32 v55, v32, v33
	s_mov_b32 s33, 0x3722bacd
	v_pk_mul_f16 v44, v57, s2 op_sel_hi:[0,1]
	s_mov_b32 s2, 0x35c8b1e1
	v_pk_add_f16 v0, v1, v0
	v_pk_fma_f16 v1, v51, s31, v43 op_sel_hi:[0,1,1]
	v_add_f16_e32 v53, v23, v24
	s_mov_b32 s34, 0x3b76bbdd
	v_pk_mul_f16 v46, v55, s2 op_sel_hi:[0,1]
	v_pk_add_f16 v0, v1, v0
	v_pk_fma_f16 v1, v52, s33, v44 op_sel_hi:[0,1,1]
	v_pk_add_f16 v0, v1, v0
	v_pk_fma_f16 v1, v53, s34, v46 op_sel_hi:[0,1,1]
	v_pk_mul_f16 v54, v69, s19 op_sel_hi:[0,1]
	v_pk_add_f16 v0, v1, v0
	v_pk_fma_f16 v1, v45, s4, v54 op_sel_hi:[0,1,1]
	v_pk_mul_f16 v56, v67, s20 op_sel_hi:[0,1]
	v_pk_add_f16 v1, v15, v1 op_sel_hi:[0,1]
	v_pk_fma_f16 v5, v47, s5, v56 op_sel_hi:[0,1,1]
	v_pk_mul_f16 v58, v65, s21 op_sel_hi:[0,1]
	v_pk_add_f16 v1, v5, v1
	v_pk_fma_f16 v5, v48, s6, v58 op_sel_hi:[0,1,1]
	v_pk_mul_f16 v60, v63, s22 op_sel_hi:[0,1]
	v_pk_add_f16 v1, v5, v1
	;; [unrolled: 3-line block ×5, first 2 shown]
	v_pk_fma_f16 v5, v52, s16, v66 op_sel_hi:[0,1,1]
	v_pk_add_f16 v5, v5, v1
	v_lshl_add_u32 v1, v9, 1, 0
	s_waitcnt lgkmcnt(0)
	s_barrier
	ds_read_u16 v11, v1
	ds_read_u16 v41, v1 offset:272
	ds_read_u16 v40, v1 offset:544
	;; [unrolled: 1-line block ×12, first 2 shown]
	v_pk_mul_f16 v68, v55, s26 op_sel_hi:[0,1]
	v_pk_fma_f16 v70, v53, s17, v68 op_sel_hi:[0,1,1]
	v_pk_add_f16 v5, v70, v5
	s_waitcnt lgkmcnt(0)
	s_barrier
	s_and_saveexec_b64 s[2:3], s[0:1]
	s_cbranch_execz .LBB0_15
; %bb.14:
	v_perm_b32 v72, v15, v15, s18
	v_add_f16_e32 v15, v15, v16
	v_add_f16_e32 v15, v15, v17
	v_add_f16_e32 v15, v15, v18
	v_add_f16_e32 v15, v15, v19
	v_add_f16_e32 v15, v15, v20
	v_add_f16_e32 v15, v15, v21
	v_pk_mul_f16 v71, v45, s35 op_sel_hi:[0,1]
	v_add_f16_e32 v15, v15, v22
	v_pk_mul_f16 v74, v47, s27 op_sel_hi:[0,1]
	v_add_f16_e32 v15, v15, v23
	v_pk_add_f16 v3, v71, v3 neg_lo:[0,1] neg_hi:[0,1]
	v_pk_mul_f16 v76, v48, s28 op_sel_hi:[0,1]
	v_add_f16_e32 v15, v15, v24
	v_pk_add_f16 v3, v72, v3
	v_pk_add_f16 v4, v74, v4 neg_lo:[0,1] neg_hi:[0,1]
	v_pk_mul_f16 v78, v49, s29 op_sel_hi:[0,1]
	v_add_f16_e32 v15, v15, v25
	v_pk_add_f16 v3, v4, v3
	;; [unrolled: 4-line block ×6, first 2 shown]
	v_pk_add_f16 v4, v84, v44 neg_lo:[0,1] neg_hi:[0,1]
	v_pack_b32_f16 v70, v45, v45
	v_pk_mul_f16 v45, v45, s4 op_sel_hi:[0,1]
	v_add_f16_e32 v15, v15, v30
	v_pk_add_f16 v3, v4, v3
	v_pk_add_f16 v4, v86, v46 neg_lo:[0,1] neg_hi:[0,1]
	v_pack_b32_f16 v73, v47, v47
	v_pk_mul_f16 v47, v47, s5 op_sel_hi:[0,1]
	v_add_f16_e32 v16, v15, v31
	v_pk_add_f16 v15, v4, v3
	v_pk_add_f16 v3, v45, v54 neg_lo:[0,1] neg_hi:[0,1]
	v_pack_b32_f16 v75, v48, v48
	v_pk_mul_f16 v48, v48, s6 op_sel_hi:[0,1]
	v_pk_add_f16 v3, v72, v3
	v_pk_add_f16 v4, v47, v56 neg_lo:[0,1] neg_hi:[0,1]
	v_pack_b32_f16 v77, v49, v49
	v_pk_mul_f16 v49, v49, s7 op_sel_hi:[0,1]
	;; [unrolled: 4-line block ×6, first 2 shown]
	v_pk_add_f16 v3, v4, v3
	v_pk_add_f16 v4, v52, v66 neg_lo:[0,1] neg_hi:[0,1]
	v_pack_b32_f16 v69, v69, v69
	v_pk_add_f16 v3, v4, v3
	v_pk_add_f16 v4, v53, v68 neg_lo:[0,1] neg_hi:[0,1]
	s_mov_b32 s1, 0xba62bbb2
	v_pack_b32_f16 v67, v67, v67
	v_pk_add_f16 v3, v4, v3
	s_mov_b32 s0, 0xb8d2b461
	v_pk_mul_f16 v4, v69, s1
	s_mov_b32 s4, 0x3bb23836
	v_pack_b32_f16 v65, v65, v65
	v_pk_fma_f16 v6, v70, s0, v4 neg_lo:[0,0,1] neg_hi:[0,0,1]
	s_mov_b32 s1, 0xb461bacd
	v_pk_mul_f16 v13, v67, s4
	s_mov_b32 s5, 0xb5c83964
	v_pack_b32_f16 v63, v63, v63
	v_pk_add_f16 v6, v72, v6
	v_pk_fma_f16 v17, v73, s1, v13 neg_lo:[0,0,1] neg_hi:[0,0,1]
	s_mov_b32 s4, 0x3b7639e9
	v_pk_mul_f16 v18, v65, s5
	s_mov_b32 s6, 0xb836bb29
	v_pack_b32_f16 v61, v61, v61
	v_pk_add_f16 v6, v17, v6
	v_pk_fma_f16 v17, v75, s4, v18 neg_lo:[0,0,1] neg_hi:[0,0,1]
	s_mov_b32 s5, 0xbacd3722
	v_pk_mul_f16 v19, v63, s6
	s_mov_b32 s7, 0x3bf7b1e1
	v_pack_b32_f16 v59, v59, v59
	v_pk_add_f16 v6, v17, v6
	v_pk_fma_f16 v17, v77, s5, v19 neg_lo:[0,0,1] neg_hi:[0,0,1]
	s_mov_b32 s6, 0x2de8bbdd
	v_pk_mul_f16 v20, v61, s7
	s_mov_b32 s10, 0xb9643bf7
	v_pack_b32_f16 v57, v57, v57
	v_pk_add_f16 v6, v17, v6
	v_pk_fma_f16 v17, v79, s6, v20 neg_lo:[0,0,1] neg_hi:[0,0,1]
	s_mov_b32 s7, 0x39e92de8
	v_pk_mul_f16 v21, v59, s10
	s_mov_b32 s11, 0xb1e1b5c8
	v_pack_b32_f16 v55, v55, v55
	v_pk_add_f16 v6, v17, v6
	v_pk_fma_f16 v17, v81, s7, v21 neg_lo:[0,0,1] neg_hi:[0,0,1]
	s_mov_b32 s10, 0xbbdd3b76
	v_pk_mul_f16 v22, v57, s11
	s_mov_b32 s16, 0x3b29ba62
	v_pk_add_f16 v6, v17, v6
	v_pk_fma_f16 v17, v83, s10, v22 neg_lo:[0,0,1] neg_hi:[0,0,1]
	s_mov_b32 s11, 0x3722b8d2
	v_pk_mul_f16 v23, v55, s16
	v_pk_add_f16 v6, v17, v6
	v_pk_fma_f16 v17, v85, s11, v23 neg_lo:[0,0,1] neg_hi:[0,0,1]
	v_pk_fma_f16 v4, v70, s0, v4
	v_pk_add_f16 v17, v17, v6
	v_pk_add_f16 v4, v72, v4
	v_pk_fma_f16 v6, v73, s1, v13
	v_pk_add_f16 v4, v6, v4
	v_pk_fma_f16 v6, v75, s4, v18
	;; [unrolled: 2-line block ×7, first 2 shown]
	s_mov_b32 s1, 0xb1e1b836
	v_pk_add_f16 v4, v6, v4
	s_mov_b32 s0, 0xbbddbacd
	v_pk_mul_f16 v6, v69, s1
	s_mov_b32 s4, 0x35c83b29
	v_pk_fma_f16 v13, v70, s0, v6 neg_lo:[0,0,1] neg_hi:[0,0,1]
	s_mov_b32 s1, 0x3b763722
	v_pk_mul_f16 v19, v67, s4
	s_mov_b32 s5, 0xb836bbf7
	v_pk_add_f16 v13, v72, v13
	v_pk_fma_f16 v18, v73, s1, v19 neg_lo:[0,0,1] neg_hi:[0,0,1]
	s_mov_b32 s4, 0xbacd2de8
	v_pk_mul_f16 v20, v65, s5
	s_mov_b32 s6, 0x39643a62
	v_pk_add_f16 v13, v18, v13
	;; [unrolled: 5-line block ×6, first 2 shown]
	v_pk_fma_f16 v18, v83, s10, v24 neg_lo:[0,0,1] neg_hi:[0,0,1]
	s_mov_b32 s11, 0x2de8b461
	v_pk_mul_f16 v25, v55, s16
	v_pk_add_f16 v13, v18, v13
	v_pk_fma_f16 v18, v85, s11, v25 neg_lo:[0,0,1] neg_hi:[0,0,1]
	v_pk_fma_f16 v6, v70, s0, v6
	v_pk_add_f16 v18, v18, v13
	v_pk_add_f16 v6, v72, v6
	v_pk_fma_f16 v13, v73, s1, v19
	v_pk_add_f16 v6, v13, v6
	v_pk_fma_f16 v13, v75, s4, v20
	;; [unrolled: 2-line block ×7, first 2 shown]
	v_pk_add_f16 v6, v13, v6
	v_lshl_add_u32 v13, v9, 5, v1
	ds_write_b16 v13, v16
	v_alignbit_b32 v16, v3, v3, 16
	v_alignbit_b32 v3, v6, v6, 16
	;; [unrolled: 1-line block ×4, first 2 shown]
	ds_write_b128 v13, v[15:18] offset:2
	ds_write_b128 v13, v[3:6] offset:18
.LBB0_15:
	s_or_b64 exec, exec, s[2:3]
	s_movk_i32 s0, 0xf1
	v_mul_lo_u16_sdwa v3, v9, s0 dst_sel:DWORD dst_unused:UNUSED_PAD src0_sel:BYTE_0 src1_sel:DWORD
	v_lshrrev_b16_e32 v23, 12, v3
	v_mul_lo_u16_e32 v3, 17, v23
	v_sub_u16_e32 v49, v9, v3
	v_mov_b32_e32 v3, 12
	v_mul_u32_u24_sdwa v3, v49, v3 dst_sel:DWORD dst_unused:UNUSED_PAD src0_sel:BYTE_0 src1_sel:DWORD
	v_lshlrev_b32_e32 v3, 2, v3
	s_waitcnt lgkmcnt(0)
	s_barrier
	global_load_dwordx4 v[15:18], v3, s[8:9]
	global_load_dwordx4 v[19:22], v3, s[8:9] offset:16
	global_load_dwordx4 v[45:48], v3, s[8:9] offset:32
	ds_read_u16 v13, v1
	ds_read_u16 v3, v1 offset:272
	ds_read_u16 v4, v1 offset:544
	;; [unrolled: 1-line block ×12, first 2 shown]
	s_movk_i32 s0, 0x3b15
	s_mov_b32 s1, 0xbbc4
	s_movk_i32 s2, 0x388b
	s_mov_b32 s3, 0xb9fd
	s_mov_b32 s17, 0xb5ac
	;; [unrolled: 1-line block ×25, first 2 shown]
	s_waitcnt vmcnt(0) lgkmcnt(0)
	s_barrier
	s_mov_b32 s6, 0xb770
	s_mov_b32 s4, 0xb3a8
	;; [unrolled: 1-line block ×3, first 2 shown]
	s_movk_i32 s16, 0x3770
	s_mov_b32 s5, 0xbbf1
	s_mov_b32 s10, 0xb94e
	;; [unrolled: 1-line block ×3, first 2 shown]
	s_movk_i32 s43, 0x3a95
	s_movk_i32 s42, 0x3bf1
	v_mul_f16_sdwa v27, v3, v15 dst_sel:DWORD dst_unused:UNUSED_PAD src0_sel:DWORD src1_sel:WORD_1
	v_mul_f16_sdwa v28, v41, v15 dst_sel:DWORD dst_unused:UNUSED_PAD src0_sel:DWORD src1_sel:WORD_1
	;; [unrolled: 1-line block ×3, first 2 shown]
	v_fma_f16 v43, v41, v15, v27
	v_mul_f16_sdwa v54, v6, v17 dst_sel:DWORD dst_unused:UNUSED_PAD src0_sel:DWORD src1_sel:WORD_1
	v_fma_f16 v44, v3, v15, -v28
	v_fma_f16 v41, v40, v16, v31
	v_add_f16_e32 v3, v11, v43
	v_mul_f16_sdwa v55, v39, v17 dst_sel:DWORD dst_unused:UNUSED_PAD src0_sel:DWORD src1_sel:WORD_1
	v_mul_f16_sdwa v56, v24, v18 dst_sel:DWORD dst_unused:UNUSED_PAD src0_sel:DWORD src1_sel:WORD_1
	v_fma_f16 v39, v39, v17, v54
	v_add_f16_e32 v3, v3, v41
	v_mul_f16_sdwa v58, v25, v19 dst_sel:DWORD dst_unused:UNUSED_PAD src0_sel:DWORD src1_sel:WORD_1
	v_fma_f16 v31, v38, v18, v56
	v_add_f16_e32 v3, v3, v39
	;; [unrolled: 3-line block ×3, first 2 shown]
	v_mul_f16_sdwa v59, v37, v19 dst_sel:DWORD dst_unused:UNUSED_PAD src0_sel:DWORD src1_sel:WORD_1
	v_mul_f16_sdwa v62, v29, v21 dst_sel:DWORD dst_unused:UNUSED_PAD src0_sel:DWORD src1_sel:WORD_1
	v_fma_f16 v15, v36, v20, v60
	v_add_f16_e32 v3, v3, v27
	v_mul_f16_sdwa v57, v38, v18 dst_sel:DWORD dst_unused:UNUSED_PAD src0_sel:DWORD src1_sel:WORD_1
	v_mul_f16_sdwa v61, v36, v20 dst_sel:DWORD dst_unused:UNUSED_PAD src0_sel:DWORD src1_sel:WORD_1
	;; [unrolled: 1-line block ×4, first 2 shown]
	v_fma_f16 v28, v25, v19, -v59
	v_fma_f16 v25, v35, v21, v62
	v_add_f16_e32 v3, v3, v15
	v_mul_f16_sdwa v66, v50, v45 dst_sel:DWORD dst_unused:UNUSED_PAD src0_sel:DWORD src1_sel:WORD_1
	v_fma_f16 v38, v24, v18, -v57
	v_fma_f16 v24, v26, v20, -v61
	;; [unrolled: 1-line block ×3, first 2 shown]
	v_fma_f16 v29, v34, v22, v64
	v_add_f16_e32 v3, v3, v25
	v_mul_f16_sdwa v67, v33, v45 dst_sel:DWORD dst_unused:UNUSED_PAD src0_sel:DWORD src1_sel:WORD_1
	v_mul_f16_sdwa v68, v51, v46 dst_sel:DWORD dst_unused:UNUSED_PAD src0_sel:DWORD src1_sel:WORD_1
	;; [unrolled: 1-line block ×3, first 2 shown]
	v_fma_f16 v33, v33, v45, v66
	v_add_f16_e32 v3, v3, v29
	v_mul_f16_sdwa v42, v40, v16 dst_sel:DWORD dst_unused:UNUSED_PAD src0_sel:DWORD src1_sel:WORD_1
	v_mul_f16_sdwa v69, v32, v46 dst_sel:DWORD dst_unused:UNUSED_PAD src0_sel:DWORD src1_sel:WORD_1
	;; [unrolled: 1-line block ×5, first 2 shown]
	v_fma_f16 v32, v32, v46, v68
	v_fma_f16 v37, v53, v48, -v73
	v_add_f16_e32 v3, v3, v33
	v_fma_f16 v42, v4, v16, -v42
	v_fma_f16 v14, v14, v47, v70
	v_fma_f16 v36, v52, v47, -v71
	v_fma_f16 v12, v12, v48, v72
	v_sub_f16_e32 v16, v44, v37
	v_add_f16_e32 v3, v3, v32
	v_mul_f16_sdwa v65, v34, v22 dst_sel:DWORD dst_unused:UNUSED_PAD src0_sel:DWORD src1_sel:WORD_1
	v_fma_f16 v40, v6, v17, -v55
	v_add_f16_e32 v6, v43, v12
	v_mul_f16_e32 v4, 0xb770, v16
	v_mul_f16_e32 v17, 0xb3a8, v16
	v_add_f16_e32 v3, v3, v14
	v_sub_f16_e32 v21, v42, v36
	v_fma_f16 v30, v30, v22, -v65
	v_fma_f16 v18, v6, s0, v4
	v_fma_f16 v4, v6, s0, -v4
	v_fma_f16 v19, v6, s1, v17
	v_add_f16_e32 v20, v3, v12
	v_fma_f16 v3, v6, s1, -v17
	v_add_f16_e32 v17, v41, v14
	v_mul_f16_e32 v22, 0xba95, v21
	v_fma_f16 v34, v50, v45, -v67
	v_add_f16_e32 v4, v11, v4
	v_fma_f16 v45, v17, s2, v22
	v_fma_f16 v22, v17, s2, -v22
	v_add_f16_e32 v18, v11, v18
	v_add_f16_e32 v4, v22, v4
	v_mul_f16_e32 v22, 0x3770, v21
	v_fma_f16 v35, v51, v46, -v69
	v_add_f16_e32 v19, v11, v19
	v_add_f16_e32 v18, v45, v18
	v_fma_f16 v45, v17, s0, v22
	v_add_f16_e32 v3, v11, v3
	v_add_f16_e32 v19, v45, v19
	v_fma_f16 v22, v17, s0, -v22
	v_sub_f16_e32 v45, v40, v35
	v_add_f16_e32 v3, v22, v3
	v_add_f16_e32 v22, v39, v32
	v_mul_f16_e32 v46, 0xbbf1, v45
	s_movk_i32 s0, 0x2fb7
	v_fma_f16 v47, v22, s0, v46
	v_fma_f16 v46, v22, s0, -v46
	v_add_f16_e32 v4, v46, v4
	v_mul_f16_e32 v46, 0xb94e, v45
	v_add_f16_e32 v18, v47, v18
	v_fma_f16 v47, v22, s3, v46
	v_add_f16_e32 v19, v47, v19
	v_fma_f16 v46, v22, s3, -v46
	v_sub_f16_e32 v47, v38, v34
	v_add_f16_e32 v3, v46, v3
	v_add_f16_e32 v46, v31, v33
	v_mul_f16_e32 v48, 0xbb7b, v47
	v_fma_f16 v50, v46, s17, v48
	v_fma_f16 v48, v46, s17, -v48
	v_add_f16_e32 v4, v48, v4
	v_mul_f16_e32 v48, 0x3a95, v47
	v_add_f16_e32 v18, v50, v18
	v_fma_f16 v50, v46, s2, v48
	v_add_f16_e32 v19, v50, v19
	v_fma_f16 v48, v46, s2, -v48
	v_sub_f16_e32 v50, v28, v30
	v_add_f16_e32 v3, v48, v3
	v_add_f16_e32 v48, v27, v29
	v_mul_f16_e32 v51, 0xb94e, v50
	v_fma_f16 v52, v48, s3, v51
	v_fma_f16 v51, v48, s3, -v51
	v_add_f16_e32 v4, v51, v4
	v_mul_f16_e32 v51, 0xbb7b, v50
	v_add_f16_e32 v18, v52, v18
	v_fma_f16 v52, v48, s17, v51
	v_fma_f16 v51, v48, s17, -v51
	v_sub_f16_e32 v53, v24, v26
	v_add_f16_e32 v19, v52, v19
	v_add_f16_e32 v51, v51, v3
	;; [unrolled: 1-line block ×3, first 2 shown]
	v_mul_f16_e32 v3, 0xb3a8, v53
	v_fma_f16 v54, v52, s1, v3
	v_fma_f16 v3, v52, s1, -v3
	s_mov_b32 s17, 0xba95bbf1
	v_add_f16_e32 v3, v3, v4
	v_pk_mul_f16 v4, v16, s17 op_sel_hi:[0,1]
	v_add_f16_e32 v18, v54, v18
	v_pk_fma_f16 v54, v6, s19, v4 op_sel_hi:[0,1,1]
	v_pk_fma_f16 v4, v6, s19, v4 op_sel_hi:[0,1,1] neg_lo:[0,0,1] neg_hi:[0,0,1]
	v_pk_mul_f16 v56, v21, s18 op_sel_hi:[0,1]
	v_pk_add_f16 v4, v11, v4 op_sel_hi:[0,1]
	v_pk_fma_f16 v57, v17, s21, v56 op_sel_hi:[0,1,1]
	v_pk_fma_f16 v56, v17, s21, v56 op_sel_hi:[0,1,1] neg_lo:[0,0,1] neg_hi:[0,0,1]
	v_add_f16_sdwa v55, v11, v54 dst_sel:DWORD dst_unused:UNUSED_PAD src0_sel:DWORD src1_sel:WORD_1
	v_add_f16_e32 v54, v11, v54
	v_pk_add_f16 v4, v56, v4
	v_pk_mul_f16 v56, v45, s20 op_sel_hi:[0,1]
	v_add_f16_sdwa v55, v57, v55 dst_sel:DWORD dst_unused:UNUSED_PAD src0_sel:WORD_1 src1_sel:DWORD
	v_add_f16_e32 v54, v57, v54
	v_pk_fma_f16 v57, v22, s23, v56 op_sel_hi:[0,1,1]
	v_pk_fma_f16 v56, v22, s23, v56 op_sel_hi:[0,1,1] neg_lo:[0,0,1] neg_hi:[0,0,1]
	v_pk_add_f16 v4, v56, v4
	v_pk_mul_f16 v56, v47, s22 op_sel_hi:[0,1]
	v_add_f16_sdwa v55, v57, v55 dst_sel:DWORD dst_unused:UNUSED_PAD src0_sel:WORD_1 src1_sel:DWORD
	v_add_f16_e32 v54, v57, v54
	v_pk_fma_f16 v57, v46, s25, v56 op_sel_hi:[0,1,1]
	v_pk_fma_f16 v56, v46, s25, v56 op_sel_hi:[0,1,1] neg_lo:[0,0,1] neg_hi:[0,0,1]
	;; [unrolled: 6-line block ×4, first 2 shown]
	v_pk_mul_f16 v16, v16, s28 op_sel_hi:[0,1]
	v_pk_add_f16 v4, v56, v4
	v_pk_fma_f16 v56, v6, s31, v16 op_sel_hi:[0,1,1]
	v_pk_fma_f16 v6, v6, s31, v16 op_sel_hi:[0,1,1] neg_lo:[0,0,1] neg_hi:[0,0,1]
	v_add_f16_sdwa v55, v57, v55 dst_sel:DWORD dst_unused:UNUSED_PAD src0_sel:WORD_1 src1_sel:DWORD
	v_add_f16_e32 v54, v57, v54
	v_add_f16_sdwa v57, v11, v56 dst_sel:DWORD dst_unused:UNUSED_PAD src0_sel:DWORD src1_sel:WORD_1
	v_add_f16_e32 v56, v11, v56
	v_pk_add_f16 v6, v11, v6 op_sel_hi:[0,1]
	v_pk_mul_f16 v11, v21, s30 op_sel_hi:[0,1]
	v_pk_fma_f16 v16, v17, s34, v11 op_sel_hi:[0,1,1]
	v_pk_fma_f16 v11, v17, s34, v11 op_sel_hi:[0,1,1] neg_lo:[0,0,1] neg_hi:[0,0,1]
	v_pk_add_f16 v6, v11, v6
	v_pk_mul_f16 v11, v45, s33 op_sel_hi:[0,1]
	v_pk_fma_f16 v17, v22, s36, v11 op_sel_hi:[0,1,1]
	v_pk_fma_f16 v11, v22, s36, v11 op_sel_hi:[0,1,1] neg_lo:[0,0,1] neg_hi:[0,0,1]
	v_add_f16_sdwa v21, v16, v57 dst_sel:DWORD dst_unused:UNUSED_PAD src0_sel:WORD_1 src1_sel:DWORD
	v_add_f16_e32 v16, v16, v56
	v_pk_add_f16 v6, v11, v6
	v_pk_mul_f16 v11, v47, s35 op_sel_hi:[0,1]
	v_add_f16_sdwa v21, v17, v21 dst_sel:DWORD dst_unused:UNUSED_PAD src0_sel:WORD_1 src1_sel:DWORD
	v_add_f16_e32 v16, v17, v16
	v_pk_fma_f16 v17, v46, s38, v11 op_sel_hi:[0,1,1]
	v_pk_fma_f16 v11, v46, s38, v11 op_sel_hi:[0,1,1] neg_lo:[0,0,1] neg_hi:[0,0,1]
	v_pk_add_f16 v6, v11, v6
	v_pk_mul_f16 v11, v50, s37 op_sel_hi:[0,1]
	v_add_f16_sdwa v21, v17, v21 dst_sel:DWORD dst_unused:UNUSED_PAD src0_sel:WORD_1 src1_sel:DWORD
	v_add_f16_e32 v16, v17, v16
	v_pk_fma_f16 v17, v48, s39, v11 op_sel_hi:[0,1,1]
	v_pk_fma_f16 v11, v48, s39, v11 op_sel_hi:[0,1,1] neg_lo:[0,0,1] neg_hi:[0,0,1]
	;; [unrolled: 6-line block ×3, first 2 shown]
	v_pk_add_f16 v6, v11, v6
	v_mul_f16_e32 v11, 0x3bf1, v53
	v_add_f16_sdwa v21, v17, v21 dst_sel:DWORD dst_unused:UNUSED_PAD src0_sel:WORD_1 src1_sel:DWORD
	v_add_f16_e32 v16, v17, v16
	v_fma_f16 v17, v52, s0, v11
	v_mov_b32_e32 v22, 1
	v_add_f16_e32 v17, v17, v19
	v_mul_u32_u24_e32 v19, 0x1ba, v23
	v_lshlrev_b32_sdwa v22, v22, v49 dst_sel:DWORD dst_unused:UNUSED_PAD src0_sel:DWORD src1_sel:BYTE_0
	v_fma_f16 v11, v52, s0, -v11
	v_add3_u32 v45, 0, v19, v22
	v_add_f16_e32 v11, v11, v51
	ds_write_b16 v45, v20
	ds_write_b16 v45, v18 offset:34
	ds_write_b16 v45, v55 offset:68
	;; [unrolled: 1-line block ×8, first 2 shown]
	ds_write_b16_d16_hi v45, v6 offset:306
	ds_write_b16 v45, v4 offset:340
	ds_write_b16_d16_hi v45, v4 offset:374
	ds_write_b16 v45, v3 offset:408
	s_waitcnt lgkmcnt(0)
	s_barrier
	ds_read_u16 v16, v1
	ds_read_u16 v20, v1 offset:442
	ds_read_u16 v17, v1 offset:884
	;; [unrolled: 1-line block ×7, first 2 shown]
	s_movk_i32 s0, 0x55
	v_cmp_gt_u32_e64 s[0:1], s0, v9
	s_and_saveexec_b64 s[2:3], s[0:1]
	s_cbranch_execz .LBB0_17
; %bb.16:
	ds_read_u16 v2, v1 offset:2482
	ds_read_u16 v4, v1 offset:2924
	;; [unrolled: 1-line block ×8, first 2 shown]
	s_mov_b32 s44, 0x5040100
	s_waitcnt lgkmcnt(6)
	v_perm_b32 v2, v4, v2, s44
	s_waitcnt lgkmcnt(4)
	v_perm_b32 v6, v11, v6, s44
	;; [unrolled: 2-line block ×3, first 2 shown]
.LBB0_17:
	s_or_b64 exec, exec, s[2:3]
	v_add_f16_e32 v11, v13, v44
	v_add_f16_e32 v11, v11, v42
	;; [unrolled: 1-line block ×13, first 2 shown]
	v_sub_f16_e32 v43, v43, v12
	v_mul_f16_e32 v11, 0x3b15, v37
	v_add_f16_e32 v36, v42, v36
	v_fma_f16 v12, v43, s16, v11
	v_fma_f16 v11, v43, s6, v11
	v_sub_f16_e32 v14, v41, v14
	v_mul_f16_e32 v41, 0x388b, v36
	v_add_f16_e32 v11, v13, v11
	v_fma_f16 v42, v14, s43, v41
	v_fma_f16 v41, v14, s7, v41
	v_add_f16_e32 v35, v40, v35
	v_add_f16_e32 v12, v13, v12
	;; [unrolled: 1-line block ×3, first 2 shown]
	v_mul_f16_e32 v41, 0x3b15, v36
	v_sub_f16_e32 v32, v39, v32
	v_mul_f16_e32 v39, 0x2fb7, v35
	v_add_f16_e32 v34, v38, v34
	v_mul_f16_e32 v44, 0xbbc4, v37
	s_movk_i32 s2, 0x33a8
	v_add_f16_e32 v12, v42, v12
	v_fma_f16 v42, v14, s6, v41
	v_fma_f16 v40, v32, s42, v39
	v_sub_f16_e32 v31, v31, v33
	v_mul_f16_e32 v33, 0xb5ac, v34
	s_movk_i32 s6, 0x3b7b
	v_add_f16_e32 v28, v28, v30
	v_fma_f16 v47, v43, s2, v44
	v_add_f16_e32 v12, v40, v12
	v_fma_f16 v39, v32, s5, v39
	s_movk_i32 s3, 0x394e
	v_fma_f16 v38, v31, s6, v33
	v_sub_f16_e32 v27, v27, v29
	v_mul_f16_e32 v29, 0xb9fd, v28
	v_add_f16_e32 v24, v24, v26
	v_add_f16_e32 v47, v13, v47
	;; [unrolled: 1-line block ×3, first 2 shown]
	v_mul_f16_e32 v39, 0xb9fd, v35
	v_add_f16_e32 v12, v38, v12
	v_fma_f16 v33, v31, s11, v33
	v_fma_f16 v30, v27, s3, v29
	v_sub_f16_e32 v15, v15, v25
	v_mul_f16_e32 v25, 0xbbc4, v24
	v_fma_f16 v44, v43, s4, v44
	v_add_f16_e32 v42, v42, v47
	v_fma_f16 v40, v32, s3, v39
	v_add_f16_e32 v11, v33, v11
	v_mul_f16_e32 v33, 0x388b, v34
	v_add_f16_e32 v12, v30, v12
	v_fma_f16 v29, v27, s10, v29
	v_fma_f16 v26, v15, s2, v25
	v_add_f16_e32 v44, v13, v44
	v_fma_f16 v41, v14, s16, v41
	v_add_f16_e32 v40, v40, v42
	;; [unrolled: 2-line block ×3, first 2 shown]
	v_mul_f16_e32 v29, 0xb5ac, v28
	v_add_f16_e32 v26, v26, v12
	v_fma_f16 v12, v15, s4, v25
	v_add_f16_e32 v41, v41, v44
	v_fma_f16 v39, v32, s10, v39
	;; [unrolled: 2-line block ×3, first 2 shown]
	v_add_f16_e32 v11, v12, v11
	v_pk_mul_f16 v12, v37, s19 op_sel_hi:[0,1]
	v_add_f16_e32 v39, v39, v41
	v_fma_f16 v33, v31, s43, v33
	v_add_f16_e32 v30, v30, v38
	v_pk_fma_f16 v25, v43, s17, v12 op_sel_hi:[0,1,1] neg_lo:[1,0,0] neg_hi:[1,0,0]
	v_pk_fma_f16 v12, v43, s17, v12 op_sel_hi:[0,1,1]
	v_pk_mul_f16 v38, v36, s21 op_sel_hi:[0,1]
	v_add_f16_e32 v33, v33, v39
	v_fma_f16 v29, v27, s11, v29
	v_pk_add_f16 v12, v13, v12 op_sel_hi:[0,1]
	v_pk_fma_f16 v39, v14, s18, v38 op_sel_hi:[0,1,1] neg_lo:[1,0,0] neg_hi:[1,0,0]
	v_pk_fma_f16 v38, v14, s18, v38 op_sel_hi:[0,1,1]
	v_add_f16_e32 v29, v29, v33
	v_add_f16_sdwa v33, v13, v25 dst_sel:DWORD dst_unused:UNUSED_PAD src0_sel:DWORD src1_sel:WORD_1
	v_add_f16_e32 v25, v13, v25
	v_pk_add_f16 v12, v38, v12
	v_pk_mul_f16 v38, v35, s23 op_sel_hi:[0,1]
	v_add_f16_sdwa v33, v39, v33 dst_sel:DWORD dst_unused:UNUSED_PAD src0_sel:WORD_1 src1_sel:DWORD
	v_add_f16_e32 v25, v39, v25
	v_pk_fma_f16 v39, v32, s20, v38 op_sel_hi:[0,1,1] neg_lo:[1,0,0] neg_hi:[1,0,0]
	v_pk_fma_f16 v38, v32, s20, v38 op_sel_hi:[0,1,1]
	v_pk_add_f16 v12, v38, v12
	v_pk_mul_f16 v38, v34, s25 op_sel_hi:[0,1]
	v_add_f16_sdwa v33, v39, v33 dst_sel:DWORD dst_unused:UNUSED_PAD src0_sel:WORD_1 src1_sel:DWORD
	v_add_f16_e32 v25, v39, v25
	v_pk_fma_f16 v39, v31, s22, v38 op_sel_hi:[0,1,1] neg_lo:[1,0,0] neg_hi:[1,0,0]
	v_pk_fma_f16 v38, v31, s22, v38 op_sel_hi:[0,1,1]
	;; [unrolled: 6-line block ×4, first 2 shown]
	v_pk_mul_f16 v37, v37, s31 op_sel_hi:[0,1]
	v_pk_add_f16 v12, v38, v12
	v_pk_fma_f16 v38, v43, s28, v37 op_sel_hi:[0,1,1] neg_lo:[1,0,0] neg_hi:[1,0,0]
	v_pk_fma_f16 v37, v43, s28, v37 op_sel_hi:[0,1,1]
	v_pk_mul_f16 v36, v36, s34 op_sel_hi:[0,1]
	v_add_f16_sdwa v33, v39, v33 dst_sel:DWORD dst_unused:UNUSED_PAD src0_sel:WORD_1 src1_sel:DWORD
	v_add_f16_e32 v25, v39, v25
	v_add_f16_sdwa v39, v13, v38 dst_sel:DWORD dst_unused:UNUSED_PAD src0_sel:DWORD src1_sel:WORD_1
	v_add_f16_e32 v38, v13, v38
	v_pk_add_f16 v13, v13, v37 op_sel_hi:[0,1]
	v_pk_fma_f16 v37, v14, s30, v36 op_sel_hi:[0,1,1] neg_lo:[1,0,0] neg_hi:[1,0,0]
	v_pk_fma_f16 v14, v14, s30, v36 op_sel_hi:[0,1,1]
	v_pk_add_f16 v13, v14, v13
	v_pk_mul_f16 v14, v35, s36 op_sel_hi:[0,1]
	v_pk_fma_f16 v35, v32, s33, v14 op_sel_hi:[0,1,1] neg_lo:[1,0,0] neg_hi:[1,0,0]
	v_pk_fma_f16 v14, v32, s33, v14 op_sel_hi:[0,1,1]
	v_pk_add_f16 v13, v14, v13
	v_pk_mul_f16 v14, v34, s38 op_sel_hi:[0,1]
	;; [unrolled: 4-line block ×4, first 2 shown]
	v_add_f16_sdwa v39, v37, v39 dst_sel:DWORD dst_unused:UNUSED_PAD src0_sel:WORD_1 src1_sel:DWORD
	v_add_f16_e32 v37, v37, v38
	v_pk_fma_f16 v27, v15, s40, v14 op_sel_hi:[0,1,1] neg_lo:[1,0,0] neg_hi:[1,0,0]
	v_pk_fma_f16 v14, v15, s40, v14 op_sel_hi:[0,1,1]
	v_add_f16_sdwa v36, v35, v39 dst_sel:DWORD dst_unused:UNUSED_PAD src0_sel:WORD_1 src1_sel:DWORD
	v_add_f16_e32 v35, v35, v37
	v_pk_add_f16 v13, v14, v13
	v_mul_f16_e32 v14, 0x2fb7, v24
	v_add_f16_sdwa v34, v32, v36 dst_sel:DWORD dst_unused:UNUSED_PAD src0_sel:WORD_1 src1_sel:DWORD
	v_add_f16_e32 v32, v32, v35
	v_fma_f16 v24, v15, s5, v14
	v_fma_f16 v14, v15, s42, v14
	v_add_f16_sdwa v31, v28, v34 dst_sel:DWORD dst_unused:UNUSED_PAD src0_sel:WORD_1 src1_sel:DWORD
	v_add_f16_e32 v28, v28, v32
	v_add_f16_e32 v14, v14, v29
	v_add_f16_sdwa v31, v27, v31 dst_sel:DWORD dst_unused:UNUSED_PAD src0_sel:WORD_1 src1_sel:DWORD
	v_add_f16_e32 v27, v27, v28
	v_add_f16_e32 v24, v24, v30
	s_waitcnt lgkmcnt(0)
	s_barrier
	ds_write_b16 v45, v46
	ds_write_b16 v45, v26 offset:34
	ds_write_b16 v45, v33 offset:68
	;; [unrolled: 1-line block ×8, first 2 shown]
	v_lshrrev_b32_e32 v14, 16, v13
	v_lshrrev_b32_e32 v15, 16, v12
	ds_write_b16 v45, v14 offset:306
	ds_write_b16 v45, v12 offset:340
	;; [unrolled: 1-line block ×4, first 2 shown]
	s_waitcnt lgkmcnt(0)
	s_barrier
	ds_read_u16 v24, v1
	ds_read_u16 v28, v1 offset:442
	ds_read_u16 v29, v1 offset:884
	;; [unrolled: 1-line block ×7, first 2 shown]
	v_lshrrev_b32_e32 v0, 16, v0
	s_and_saveexec_b64 s[2:3], s[0:1]
	s_cbranch_execz .LBB0_19
; %bb.18:
	ds_read_u16 v13, v1 offset:272
	ds_read_u16 v14, v1 offset:714
	;; [unrolled: 1-line block ×8, first 2 shown]
	s_mov_b32 s4, 0x5040100
	s_waitcnt lgkmcnt(1)
	v_perm_b32 v5, v32, v5, s4
.LBB0_19:
	s_or_b64 exec, exec, s[2:3]
	s_and_saveexec_b64 s[2:3], vcc
	s_cbranch_execz .LBB0_22
; %bb.20:
	v_mul_u32_u24_e32 v1, 7, v9
	v_lshlrev_b32_e32 v1, 2, v1
	global_load_dwordx4 v[32:35], v1, s[8:9] offset:816
	global_load_dwordx3 v[36:38], v1, s[8:9] offset:832
	v_mad_u64_u32 v[39:40], s[2:3], s12, v9, 0
	s_movk_i32 s2, 0x39a8
	s_mov_b32 s3, 0xb9a8
	v_mov_b32_e32 v1, v40
	v_mad_u64_u32 v[40:41], s[4:5], s13, v9, v[1:2]
	s_waitcnt vmcnt(1)
	v_lshrrev_b32_e32 v1, 16, v34
	v_lshrrev_b32_e32 v41, 16, v35
	v_mul_f16_e32 v42, v18, v35
	v_mul_f16_sdwa v43, v17, v33 dst_sel:DWORD dst_unused:UNUSED_PAD src0_sel:DWORD src1_sel:WORD_1
	s_waitcnt vmcnt(0)
	v_lshrrev_b32_e32 v44, 16, v38
	v_mul_f16_sdwa v45, v19, v37 dst_sel:DWORD dst_unused:UNUSED_PAD src0_sel:DWORD src1_sel:WORD_1
	v_mul_f16_sdwa v46, v20, v32 dst_sel:DWORD dst_unused:UNUSED_PAD src0_sel:DWORD src1_sel:WORD_1
	;; [unrolled: 1-line block ×3, first 2 shown]
	v_mul_f16_e32 v48, v21, v34
	v_mul_f16_e32 v49, v23, v38
	s_waitcnt lgkmcnt(6)
	v_mul_f16_sdwa v50, v28, v32 dst_sel:DWORD dst_unused:UNUSED_PAD src0_sel:DWORD src1_sel:WORD_1
	s_waitcnt lgkmcnt(2)
	v_mul_f16_sdwa v51, v30, v36 dst_sel:DWORD dst_unused:UNUSED_PAD src0_sel:DWORD src1_sel:WORD_1
	v_mul_f16_sdwa v52, v29, v33 dst_sel:DWORD dst_unused:UNUSED_PAD src0_sel:DWORD src1_sel:WORD_1
	s_waitcnt lgkmcnt(1)
	v_mul_f16_sdwa v53, v31, v37 dst_sel:DWORD dst_unused:UNUSED_PAD src0_sel:DWORD src1_sel:WORD_1
	v_fma_f16 v42, v25, v41, v42
	v_fma_f16 v29, v29, v33, -v43
	v_fma_f16 v31, v31, v37, -v45
	;; [unrolled: 1-line block ×4, first 2 shown]
	v_fma_f16 v43, v26, v1, v48
	s_waitcnt lgkmcnt(0)
	v_fma_f16 v45, v27, v44, v49
	v_fma_f16 v20, v20, v32, v50
	;; [unrolled: 1-line block ×3, first 2 shown]
	v_mul_f16_e32 v1, v21, v1
	v_mul_f16_e32 v21, v23, v44
	;; [unrolled: 1-line block ×3, first 2 shown]
	v_fma_f16 v17, v17, v33, v52
	v_fma_f16 v19, v19, v37, v53
	v_sub_f16_e32 v23, v16, v42
	v_sub_f16_e32 v31, v29, v31
	;; [unrolled: 1-line block ×5, first 2 shown]
	v_fma_f16 v1, v26, v34, -v1
	v_fma_f16 v21, v27, v38, -v21
	;; [unrolled: 1-line block ×3, first 2 shown]
	v_sub_f16_e32 v19, v17, v19
	v_sub_f16_e32 v21, v1, v21
	;; [unrolled: 1-line block ×3, first 2 shown]
	v_fma_f16 v16, v16, 2.0, -v23
	v_fma_f16 v17, v17, 2.0, -v19
	;; [unrolled: 1-line block ×6, first 2 shown]
	v_add_f16_e32 v25, v23, v31
	v_sub_f16_e32 v26, v30, v32
	v_add_f16_e32 v31, v22, v21
	v_sub_f16_e32 v19, v18, v19
	v_sub_f16_e32 v17, v16, v17
	v_fma_f16 v1, v1, 2.0, -v21
	v_fma_f16 v21, v24, 2.0, -v18
	v_sub_f16_e32 v24, v20, v29
	v_fma_f16 v23, v23, 2.0, -v25
	v_fma_f16 v29, v30, 2.0, -v26
	v_fma_f16 v30, v31, s2, v25
	v_fma_f16 v32, v26, s2, v19
	v_sub_f16_e32 v1, v27, v1
	v_sub_f16_e32 v28, v21, v28
	v_fma_f16 v22, v22, 2.0, -v31
	v_fma_f16 v16, v16, 2.0, -v17
	;; [unrolled: 1-line block ×4, first 2 shown]
	v_fma_f16 v26, v26, s2, v30
	v_fma_f16 v30, v31, s3, v32
	v_add_f16_e32 v31, v17, v1
	v_fma_f16 v32, v22, s3, v23
	v_sub_f16_e32 v34, v16, v20
	v_fma_f16 v20, v21, 2.0, -v28
	v_fma_f16 v1, v27, 2.0, -v1
	v_fma_f16 v33, v29, s3, v18
	v_fma_f16 v29, v29, s2, v32
	v_sub_f16_e32 v32, v20, v1
	v_fma_f16 v37, v20, 2.0, -v32
	v_add_u32_e32 v20, 0xdd, v9
	v_fma_f16 v22, v22, s3, v33
	v_fma_f16 v33, v17, 2.0, -v31
	v_fma_f16 v36, v16, 2.0, -v34
	v_mad_u64_u32 v[16:17], s[4:5], s12, v20, 0
	v_fma_f16 v35, v18, 2.0, -v22
	v_mov_b32_e32 v18, s15
	v_add_co_u32_e32 v1, vcc, s14, v7
	v_addc_co_u32_e32 v7, vcc, v18, v8, vcc
	v_mov_b32_e32 v8, v17
	v_fma_f16 v27, v19, 2.0, -v30
	v_lshlrev_b64 v[18:19], 2, v[39:40]
	v_mad_u64_u32 v[20:21], s[4:5], s13, v20, v[8:9]
	v_add_co_u32_e32 v17, vcc, v1, v18
	v_addc_co_u32_e32 v18, vcc, v7, v19, vcc
	v_pack_b32_f16 v8, v36, v37
	global_store_dword v[17:18], v8, off
	v_mov_b32_e32 v17, v20
	v_add_u32_e32 v20, 0x1ba, v9
	v_mad_u64_u32 v[18:19], s[4:5], s12, v20, 0
	v_fma_f16 v23, v23, 2.0, -v29
	v_pack_b32_f16 v23, v23, v35
	v_mov_b32_e32 v8, v19
	v_mad_u64_u32 v[19:20], s[4:5], s13, v20, v[8:9]
	v_add_u32_e32 v35, 0x297, v9
	v_mad_u64_u32 v[20:21], s[4:5], s12, v35, 0
	v_lshlrev_b64 v[16:17], 2, v[16:17]
	v_sub_f16_e32 v24, v28, v24
	v_add_co_u32_e32 v16, vcc, v1, v16
	v_addc_co_u32_e32 v17, vcc, v7, v17, vcc
	v_mov_b32_e32 v8, v21
	global_store_dword v[16:17], v23, off
	v_lshlrev_b64 v[16:17], 2, v[18:19]
	v_mad_u64_u32 v[18:19], s[4:5], s13, v35, v[8:9]
	v_fma_f16 v28, v28, 2.0, -v24
	v_add_co_u32_e32 v16, vcc, v1, v16
	v_addc_co_u32_e32 v17, vcc, v7, v17, vcc
	v_pack_b32_f16 v8, v33, v28
	v_mov_b32_e32 v21, v18
	global_store_dword v[16:17], v8, off
	v_lshlrev_b64 v[16:17], 2, v[20:21]
	v_add_u32_e32 v20, 0x374, v9
	v_mad_u64_u32 v[18:19], s[4:5], s12, v20, 0
	v_fma_f16 v25, v25, 2.0, -v26
	v_pack_b32_f16 v23, v25, v27
	v_mov_b32_e32 v8, v19
	v_mad_u64_u32 v[19:20], s[4:5], s13, v20, v[8:9]
	v_add_u32_e32 v25, 0x451, v9
	v_mad_u64_u32 v[20:21], s[4:5], s12, v25, 0
	v_add_co_u32_e32 v16, vcc, v1, v16
	v_addc_co_u32_e32 v17, vcc, v7, v17, vcc
	v_mov_b32_e32 v8, v21
	global_store_dword v[16:17], v23, off
	v_lshlrev_b64 v[16:17], 2, v[18:19]
	v_mad_u64_u32 v[18:19], s[4:5], s13, v25, v[8:9]
	v_add_co_u32_e32 v16, vcc, v1, v16
	v_addc_co_u32_e32 v17, vcc, v7, v17, vcc
	v_pack_b32_f16 v8, v34, v32
	v_mov_b32_e32 v21, v18
	global_store_dword v[16:17], v8, off
	v_lshlrev_b64 v[16:17], 2, v[20:21]
	v_add_u32_e32 v20, 0x52e, v9
	v_mad_u64_u32 v[18:19], s[4:5], s12, v20, 0
	v_add_u32_e32 v23, 0x60b, v9
	v_add_co_u32_e32 v16, vcc, v1, v16
	v_mov_b32_e32 v8, v19
	v_mad_u64_u32 v[19:20], s[4:5], s13, v20, v[8:9]
	v_mad_u64_u32 v[20:21], s[4:5], s12, v23, 0
	v_addc_co_u32_e32 v17, vcc, v7, v17, vcc
	v_pack_b32_f16 v22, v29, v22
	v_mov_b32_e32 v8, v21
	global_store_dword v[16:17], v22, off
	v_lshlrev_b64 v[16:17], 2, v[18:19]
	v_mad_u64_u32 v[18:19], s[4:5], s13, v23, v[8:9]
	v_add_co_u32_e32 v16, vcc, v1, v16
	v_addc_co_u32_e32 v17, vcc, v7, v17, vcc
	v_pack_b32_f16 v8, v31, v24
	v_mov_b32_e32 v21, v18
	global_store_dword v[16:17], v8, off
	v_lshlrev_b64 v[16:17], 2, v[20:21]
	v_pack_b32_f16 v8, v26, v30
	v_add_co_u32_e32 v16, vcc, v1, v16
	v_addc_co_u32_e32 v17, vcc, v7, v17, vcc
	global_store_dword v[16:17], v8, off
	s_and_b64 exec, exec, s[0:1]
	s_cbranch_execz .LBB0_22
; %bb.21:
	v_add_u32_e32 v8, 0x88, v9
	v_add_u32_e32 v16, 0xffffffab, v9
	v_cndmask_b32_e64 v16, v16, v8, s[0:1]
	v_mul_i32_i24_e32 v16, 7, v16
	v_mov_b32_e32 v17, 0
	v_lshlrev_b64 v[16:17], 2, v[16:17]
	v_mov_b32_e32 v18, s9
	v_add_co_u32_e32 v23, vcc, s8, v16
	v_addc_co_u32_e32 v24, vcc, v18, v17, vcc
	global_load_dwordx4 v[16:19], v[23:24], off offset:816
	global_load_dwordx3 v[20:22], v[23:24], off offset:832
	v_lshrrev_b32_e32 v23, 16, v6
	v_lshrrev_b32_e32 v24, 16, v4
	;; [unrolled: 1-line block ×4, first 2 shown]
	s_waitcnt vmcnt(1)
	v_mul_f16_sdwa v27, v14, v16 dst_sel:DWORD dst_unused:UNUSED_PAD src0_sel:DWORD src1_sel:WORD_1
	v_mul_f16_sdwa v28, v23, v16 dst_sel:DWORD dst_unused:UNUSED_PAD src0_sel:DWORD src1_sel:WORD_1
	v_mul_f16_sdwa v30, v4, v17 dst_sel:DWORD dst_unused:UNUSED_PAD src0_sel:DWORD src1_sel:WORD_1
	v_mul_f16_sdwa v31, v15, v18 dst_sel:DWORD dst_unused:UNUSED_PAD src0_sel:DWORD src1_sel:WORD_1
	v_mul_f16_sdwa v32, v24, v18 dst_sel:DWORD dst_unused:UNUSED_PAD src0_sel:DWORD src1_sel:WORD_1
	v_mul_f16_sdwa v33, v11, v19 dst_sel:DWORD dst_unused:UNUSED_PAD src0_sel:DWORD src1_sel:WORD_1
	s_waitcnt vmcnt(0)
	v_mul_f16_sdwa v35, v5, v20 dst_sel:DWORD dst_unused:UNUSED_PAD src0_sel:DWORD src1_sel:WORD_1
	v_mul_f16_sdwa v38, v25, v21 dst_sel:DWORD dst_unused:UNUSED_PAD src0_sel:DWORD src1_sel:WORD_1
	;; [unrolled: 1-line block ×8, first 2 shown]
	v_fma_f16 v23, v23, v16, v27
	v_fma_f16 v14, v14, v16, -v28
	v_fma_f16 v12, v12, v17, -v30
	v_fma_f16 v16, v24, v18, v31
	v_fma_f16 v15, v15, v18, -v32
	v_fma_f16 v3, v3, v19, v33
	v_fma_f16 v2, v2, v20, v35
	v_fma_f16 v18, v26, v21, -v38
	v_fma_f16 v0, v0, v22, -v40
	v_fma_f16 v4, v4, v17, v29
	v_fma_f16 v11, v11, v19, -v34
	v_fma_f16 v5, v5, v20, -v36
	v_fma_f16 v17, v25, v21, v37
	v_fma_f16 v10, v10, v22, v39
	v_sub_f16_e32 v3, v6, v3
	v_sub_f16_e32 v18, v12, v18
	;; [unrolled: 1-line block ×8, first 2 shown]
	v_fma_f16 v12, v12, 2.0, -v18
	v_fma_f16 v15, v15, 2.0, -v0
	v_add_f16_e32 v18, v3, v18
	v_add_f16_e32 v0, v2, v0
	v_fma_f16 v6, v6, 2.0, -v3
	v_fma_f16 v4, v4, 2.0, -v17
	;; [unrolled: 1-line block ×4, first 2 shown]
	v_sub_f16_e32 v17, v11, v17
	v_sub_f16_e32 v10, v5, v10
	v_fma_f16 v3, v3, 2.0, -v18
	v_fma_f16 v2, v2, 2.0, -v0
	;; [unrolled: 1-line block ×6, first 2 shown]
	v_fma_f16 v22, v2, s3, v3
	v_fma_f16 v23, v5, s3, v11
	;; [unrolled: 1-line block ×4, first 2 shown]
	v_fma_f16 v26, v3, 2.0, -v22
	v_mad_u64_u32 v[2:3], s[0:1], s12, v8, 0
	v_sub_f16_e32 v4, v6, v4
	v_sub_f16_e32 v16, v19, v16
	;; [unrolled: 1-line block ×3, first 2 shown]
	v_fma_f16 v21, v10, s2, v17
	v_fma_f16 v6, v6, 2.0, -v4
	v_fma_f16 v19, v19, 2.0, -v16
	v_fma_f16 v20, v0, s2, v18
	v_fma_f16 v14, v14, 2.0, -v15
	v_add_f16_e32 v15, v4, v15
	v_sub_f16_e32 v19, v6, v19
	v_fma_f16 v21, v0, s3, v21
	v_mov_b32_e32 v0, v3
	v_fma_f16 v24, v4, 2.0, -v15
	v_fma_f16 v25, v6, 2.0, -v19
	v_mad_u64_u32 v[3:4], s[0:1], s13, v8, v[0:1]
	v_add_u32_e32 v6, 0x165, v9
	v_mad_u64_u32 v[4:5], s[0:1], s12, v6, 0
	v_sub_f16_e32 v12, v13, v12
	v_fma_f16 v13, v13, 2.0, -v12
	v_mov_b32_e32 v0, v5
	v_lshlrev_b64 v[2:3], 2, v[2:3]
	v_mad_u64_u32 v[5:6], s[0:1], s13, v6, v[0:1]
	v_sub_f16_e32 v14, v13, v14
	v_fma_f16 v13, v13, 2.0, -v14
	v_add_co_u32_e32 v2, vcc, v1, v2
	v_addc_co_u32_e32 v3, vcc, v7, v3, vcc
	v_pack_b32_f16 v0, v25, v13
	v_add_u32_e32 v6, 0x242, v9
	global_store_dword v[2:3], v0, off
	v_lshlrev_b64 v[2:3], 2, v[4:5]
	v_mad_u64_u32 v[4:5], s[0:1], s12, v6, 0
	v_fma_f16 v11, v11, 2.0, -v23
	v_fma_f16 v20, v10, s2, v20
	v_mov_b32_e32 v0, v5
	v_mad_u64_u32 v[5:6], s[0:1], s13, v6, v[0:1]
	v_add_u32_e32 v6, 0x31f, v9
	v_pack_b32_f16 v13, v26, v11
	v_mad_u64_u32 v[10:11], s[0:1], s12, v6, 0
	v_add_co_u32_e32 v2, vcc, v1, v2
	v_addc_co_u32_e32 v3, vcc, v7, v3, vcc
	v_mov_b32_e32 v0, v11
	global_store_dword v[2:3], v13, off
	v_lshlrev_b64 v[2:3], 2, v[4:5]
	v_mad_u64_u32 v[4:5], s[0:1], s13, v6, v[0:1]
	v_add_u32_e32 v6, 0x3fc, v9
	v_sub_f16_e32 v16, v12, v16
	v_mov_b32_e32 v11, v4
	v_mad_u64_u32 v[4:5], s[0:1], s12, v6, 0
	v_fma_f16 v12, v12, 2.0, -v16
	v_add_co_u32_e32 v2, vcc, v1, v2
	v_addc_co_u32_e32 v3, vcc, v7, v3, vcc
	v_pack_b32_f16 v0, v24, v12
	global_store_dword v[2:3], v0, off
	v_mov_b32_e32 v0, v5
	v_mad_u64_u32 v[5:6], s[0:1], s13, v6, v[0:1]
	v_add_u32_e32 v6, 0x4d9, v9
	v_lshlrev_b64 v[2:3], 2, v[10:11]
	v_mad_u64_u32 v[10:11], s[0:1], s12, v6, 0
	v_fma_f16 v18, v18, 2.0, -v20
	v_fma_f16 v8, v17, 2.0, -v21
	v_add_co_u32_e32 v2, vcc, v1, v2
	v_addc_co_u32_e32 v3, vcc, v7, v3, vcc
	v_pack_b32_f16 v8, v18, v8
	v_mov_b32_e32 v0, v11
	global_store_dword v[2:3], v8, off
	v_lshlrev_b64 v[2:3], 2, v[4:5]
	v_mad_u64_u32 v[4:5], s[0:1], s13, v6, v[0:1]
	v_add_u32_e32 v6, 0x5b6, v9
	v_add_co_u32_e32 v2, vcc, v1, v2
	v_mov_b32_e32 v11, v4
	v_mad_u64_u32 v[4:5], s[0:1], s12, v6, 0
	v_addc_co_u32_e32 v3, vcc, v7, v3, vcc
	v_pack_b32_f16 v0, v19, v14
	global_store_dword v[2:3], v0, off
	v_mov_b32_e32 v0, v5
	v_mad_u64_u32 v[5:6], s[0:1], s13, v6, v[0:1]
	v_add_u32_e32 v6, 0x693, v9
	v_mad_u64_u32 v[8:9], s[0:1], s12, v6, 0
	v_lshlrev_b64 v[2:3], 2, v[10:11]
	v_pack_b32_f16 v10, v22, v23
	v_add_co_u32_e32 v2, vcc, v1, v2
	v_addc_co_u32_e32 v3, vcc, v7, v3, vcc
	v_mov_b32_e32 v0, v9
	global_store_dword v[2:3], v10, off
	v_lshlrev_b64 v[2:3], 2, v[4:5]
	v_mad_u64_u32 v[4:5], s[0:1], s13, v6, v[0:1]
	v_add_co_u32_e32 v2, vcc, v1, v2
	v_addc_co_u32_e32 v3, vcc, v7, v3, vcc
	v_pack_b32_f16 v0, v15, v16
	v_mov_b32_e32 v9, v4
	global_store_dword v[2:3], v0, off
	v_lshlrev_b64 v[2:3], 2, v[8:9]
	v_add_co_u32_e32 v0, vcc, v1, v2
	v_addc_co_u32_e32 v1, vcc, v7, v3, vcc
	v_pack_b32_f16 v2, v20, v21
	global_store_dword v[0:1], v2, off
.LBB0_22:
	s_endpgm
	.section	.rodata,"a",@progbits
	.p2align	6, 0x0
	.amdhsa_kernel fft_rtc_back_len1768_factors_17_13_8_wgs_136_tpt_136_halfLds_half_ip_CI_sbrr_dirReg
		.amdhsa_group_segment_fixed_size 0
		.amdhsa_private_segment_fixed_size 0
		.amdhsa_kernarg_size 88
		.amdhsa_user_sgpr_count 6
		.amdhsa_user_sgpr_private_segment_buffer 1
		.amdhsa_user_sgpr_dispatch_ptr 0
		.amdhsa_user_sgpr_queue_ptr 0
		.amdhsa_user_sgpr_kernarg_segment_ptr 1
		.amdhsa_user_sgpr_dispatch_id 0
		.amdhsa_user_sgpr_flat_scratch_init 0
		.amdhsa_user_sgpr_private_segment_size 0
		.amdhsa_uses_dynamic_stack 0
		.amdhsa_system_sgpr_private_segment_wavefront_offset 0
		.amdhsa_system_sgpr_workgroup_id_x 1
		.amdhsa_system_sgpr_workgroup_id_y 0
		.amdhsa_system_sgpr_workgroup_id_z 0
		.amdhsa_system_sgpr_workgroup_info 0
		.amdhsa_system_vgpr_workitem_id 0
		.amdhsa_next_free_vgpr 89
		.amdhsa_next_free_sgpr 45
		.amdhsa_reserve_vcc 1
		.amdhsa_reserve_flat_scratch 0
		.amdhsa_float_round_mode_32 0
		.amdhsa_float_round_mode_16_64 0
		.amdhsa_float_denorm_mode_32 3
		.amdhsa_float_denorm_mode_16_64 3
		.amdhsa_dx10_clamp 1
		.amdhsa_ieee_mode 1
		.amdhsa_fp16_overflow 0
		.amdhsa_exception_fp_ieee_invalid_op 0
		.amdhsa_exception_fp_denorm_src 0
		.amdhsa_exception_fp_ieee_div_zero 0
		.amdhsa_exception_fp_ieee_overflow 0
		.amdhsa_exception_fp_ieee_underflow 0
		.amdhsa_exception_fp_ieee_inexact 0
		.amdhsa_exception_int_div_zero 0
	.end_amdhsa_kernel
	.text
.Lfunc_end0:
	.size	fft_rtc_back_len1768_factors_17_13_8_wgs_136_tpt_136_halfLds_half_ip_CI_sbrr_dirReg, .Lfunc_end0-fft_rtc_back_len1768_factors_17_13_8_wgs_136_tpt_136_halfLds_half_ip_CI_sbrr_dirReg
                                        ; -- End function
	.section	.AMDGPU.csdata,"",@progbits
; Kernel info:
; codeLenInByte = 12884
; NumSgprs: 49
; NumVgprs: 89
; ScratchSize: 0
; MemoryBound: 0
; FloatMode: 240
; IeeeMode: 1
; LDSByteSize: 0 bytes/workgroup (compile time only)
; SGPRBlocks: 6
; VGPRBlocks: 22
; NumSGPRsForWavesPerEU: 49
; NumVGPRsForWavesPerEU: 89
; Occupancy: 2
; WaveLimiterHint : 1
; COMPUTE_PGM_RSRC2:SCRATCH_EN: 0
; COMPUTE_PGM_RSRC2:USER_SGPR: 6
; COMPUTE_PGM_RSRC2:TRAP_HANDLER: 0
; COMPUTE_PGM_RSRC2:TGID_X_EN: 1
; COMPUTE_PGM_RSRC2:TGID_Y_EN: 0
; COMPUTE_PGM_RSRC2:TGID_Z_EN: 0
; COMPUTE_PGM_RSRC2:TIDIG_COMP_CNT: 0
	.type	__hip_cuid_daf1cf2c8af7560d,@object ; @__hip_cuid_daf1cf2c8af7560d
	.section	.bss,"aw",@nobits
	.globl	__hip_cuid_daf1cf2c8af7560d
__hip_cuid_daf1cf2c8af7560d:
	.byte	0                               ; 0x0
	.size	__hip_cuid_daf1cf2c8af7560d, 1

	.ident	"AMD clang version 19.0.0git (https://github.com/RadeonOpenCompute/llvm-project roc-6.4.0 25133 c7fe45cf4b819c5991fe208aaa96edf142730f1d)"
	.section	".note.GNU-stack","",@progbits
	.addrsig
	.addrsig_sym __hip_cuid_daf1cf2c8af7560d
	.amdgpu_metadata
---
amdhsa.kernels:
  - .args:
      - .actual_access:  read_only
        .address_space:  global
        .offset:         0
        .size:           8
        .value_kind:     global_buffer
      - .offset:         8
        .size:           8
        .value_kind:     by_value
      - .actual_access:  read_only
        .address_space:  global
        .offset:         16
        .size:           8
        .value_kind:     global_buffer
      - .actual_access:  read_only
        .address_space:  global
        .offset:         24
        .size:           8
        .value_kind:     global_buffer
      - .offset:         32
        .size:           8
        .value_kind:     by_value
      - .actual_access:  read_only
        .address_space:  global
        .offset:         40
        .size:           8
        .value_kind:     global_buffer
      - .actual_access:  read_only
        .address_space:  global
        .offset:         48
        .size:           8
        .value_kind:     global_buffer
      - .offset:         56
        .size:           4
        .value_kind:     by_value
      - .actual_access:  read_only
        .address_space:  global
        .offset:         64
        .size:           8
        .value_kind:     global_buffer
      - .actual_access:  read_only
        .address_space:  global
        .offset:         72
        .size:           8
        .value_kind:     global_buffer
      - .address_space:  global
        .offset:         80
        .size:           8
        .value_kind:     global_buffer
    .group_segment_fixed_size: 0
    .kernarg_segment_align: 8
    .kernarg_segment_size: 88
    .language:       OpenCL C
    .language_version:
      - 2
      - 0
    .max_flat_workgroup_size: 136
    .name:           fft_rtc_back_len1768_factors_17_13_8_wgs_136_tpt_136_halfLds_half_ip_CI_sbrr_dirReg
    .private_segment_fixed_size: 0
    .sgpr_count:     49
    .sgpr_spill_count: 0
    .symbol:         fft_rtc_back_len1768_factors_17_13_8_wgs_136_tpt_136_halfLds_half_ip_CI_sbrr_dirReg.kd
    .uniform_work_group_size: 1
    .uses_dynamic_stack: false
    .vgpr_count:     89
    .vgpr_spill_count: 0
    .wavefront_size: 64
amdhsa.target:   amdgcn-amd-amdhsa--gfx906
amdhsa.version:
  - 1
  - 2
...

	.end_amdgpu_metadata
